;; amdgpu-corpus repo=ROCm/rocFFT kind=compiled arch=gfx950 opt=O3
	.text
	.amdgcn_target "amdgcn-amd-amdhsa--gfx950"
	.amdhsa_code_object_version 6
	.protected	bluestein_single_back_len572_dim1_sp_op_CI_CI ; -- Begin function bluestein_single_back_len572_dim1_sp_op_CI_CI
	.globl	bluestein_single_back_len572_dim1_sp_op_CI_CI
	.p2align	8
	.type	bluestein_single_back_len572_dim1_sp_op_CI_CI,@function
bluestein_single_back_len572_dim1_sp_op_CI_CI: ; @bluestein_single_back_len572_dim1_sp_op_CI_CI
; %bb.0:
	s_load_dwordx4 s[4:7], s[0:1], 0x28
	v_mul_u32_u24_e32 v1, 0x4ed, v0
	v_add_u32_sdwa v60, s2, v1 dst_sel:DWORD dst_unused:UNUSED_PAD src0_sel:DWORD src1_sel:WORD_1
	v_mov_b32_e32 v61, 0
	s_waitcnt lgkmcnt(0)
	v_cmp_gt_u64_e32 vcc, s[4:5], v[60:61]
	s_and_saveexec_b64 s[2:3], vcc
	s_cbranch_execz .LBB0_23
; %bb.1:
	s_load_dwordx2 s[12:13], s[0:1], 0x0
	s_load_dwordx2 s[14:15], s[0:1], 0x38
	v_mov_b32_e32 v2, 52
	v_mul_lo_u16_sdwa v1, v1, v2 dst_sel:DWORD dst_unused:UNUSED_PAD src0_sel:WORD_1 src1_sel:DWORD
	v_sub_u16_e32 v61, v0, v1
	v_cmp_gt_u16_e64 s[4:5], 44, v61
	v_lshlrev_b32_e32 v58, 3, v61
	s_and_saveexec_b64 s[2:3], s[4:5]
	s_cbranch_execz .LBB0_3
; %bb.2:
	s_load_dwordx2 s[8:9], s[0:1], 0x18
	v_mov_b32_e32 v0, s6
	v_mov_b32_e32 v1, s7
	;; [unrolled: 1-line block ×4, first 2 shown]
	s_waitcnt lgkmcnt(0)
	s_load_dwordx4 s[8:11], s[8:9], 0x0
	s_waitcnt lgkmcnt(0)
	v_mad_u64_u32 v[2:3], s[6:7], s10, v60, 0
	v_mad_u64_u32 v[4:5], s[6:7], s8, v61, 0
	v_mov_b32_e32 v6, v3
	v_mov_b32_e32 v8, v5
	v_mad_u64_u32 v[6:7], s[6:7], s11, v60, v[6:7]
	v_mov_b32_e32 v3, v6
	v_mad_u64_u32 v[6:7], s[6:7], s9, v61, v[8:9]
	v_mov_b32_e32 v5, v6
	v_lshl_add_u64 v[0:1], v[2:3], 3, v[0:1]
	v_lshl_add_u64 v[0:1], v[4:5], 3, v[0:1]
	global_load_dwordx2 v[2:3], v[0:1], off
	v_mad_u64_u32 v[0:1], s[6:7], s8, v52, v[0:1]
	s_mulk_i32 s9, 0x160
	v_add_u32_e32 v1, s9, v1
	v_mad_u64_u32 v[6:7], s[6:7], s8, v52, v[0:1]
	v_add_u32_e32 v7, s9, v7
	v_mad_u64_u32 v[14:15], s[6:7], s8, v52, v[6:7]
	;; [unrolled: 2-line block ×3, first 2 shown]
	v_add_u32_e32 v17, s9, v17
	global_load_dwordx2 v[8:9], v58, s[12:13]
	global_load_dwordx2 v[10:11], v58, s[12:13] offset:352
	global_load_dwordx2 v[12:13], v58, s[12:13] offset:704
	v_lshl_add_u64 v[4:5], s[12:13], 0, v[58:59]
	global_load_dwordx2 v[0:1], v[0:1], off
	s_nop 0
	global_load_dwordx2 v[18:19], v[6:7], off
	global_load_dwordx2 v[20:21], v[14:15], off
	;; [unrolled: 1-line block ×3, first 2 shown]
	v_mad_u64_u32 v[6:7], s[6:7], s8, v52, v[16:17]
	v_add_u32_e32 v7, s9, v7
	global_load_dwordx2 v[14:15], v[6:7], off
	global_load_dwordx2 v[16:17], v58, s[12:13] offset:1056
	v_mad_u64_u32 v[6:7], s[6:7], s8, v52, v[6:7]
	v_add_u32_e32 v7, s9, v7
	global_load_dwordx2 v[24:25], v[6:7], off
	global_load_dwordx2 v[26:27], v58, s[12:13] offset:1408
	global_load_dwordx2 v[28:29], v58, s[12:13] offset:1760
	;; [unrolled: 1-line block ×3, first 2 shown]
	v_mad_u64_u32 v[6:7], s[6:7], s8, v52, v[6:7]
	v_add_u32_e32 v7, s9, v7
	global_load_dwordx2 v[32:33], v[6:7], off
	v_mad_u64_u32 v[6:7], s[6:7], s8, v52, v[6:7]
	v_add_u32_e32 v7, s9, v7
	global_load_dwordx2 v[34:35], v[6:7], off
	v_mad_u64_u32 v[6:7], s[6:7], s8, v52, v[6:7]
	v_add_u32_e32 v7, s9, v7
	global_load_dwordx2 v[36:37], v58, s[12:13] offset:2464
	global_load_dwordx2 v[38:39], v[6:7], off
	v_mad_u64_u32 v[6:7], s[6:7], s8, v52, v[6:7]
	v_add_u32_e32 v7, s9, v7
	global_load_dwordx2 v[40:41], v58, s[12:13] offset:2816
	global_load_dwordx2 v[42:43], v[6:7], off
	global_load_dwordx2 v[44:45], v58, s[12:13] offset:3168
	global_load_dwordx2 v[46:47], v58, s[12:13] offset:3520
	v_mad_u64_u32 v[6:7], s[6:7], s8, v52, v[6:7]
	v_add_u32_e32 v7, s9, v7
	global_load_dwordx2 v[48:49], v[6:7], off
	global_load_dwordx2 v[50:51], v58, s[12:13] offset:3872
	v_add_co_u32_e32 v4, vcc, 0x1000, v4
	v_mad_u64_u32 v[6:7], s[6:7], s8, v52, v[6:7]
	s_nop 0
	v_addc_co_u32_e32 v5, vcc, 0, v5, vcc
	v_add_u32_e32 v7, s9, v7
	global_load_dwordx2 v[52:53], v[4:5], off offset:128
	global_load_dwordx2 v[54:55], v[6:7], off
	s_waitcnt vmcnt(24)
	v_mul_f32_e32 v4, v3, v9
	v_mul_f32_e32 v5, v2, v9
	v_fmac_f32_e32 v4, v2, v8
	v_fma_f32 v5, v3, v8, -v5
	s_waitcnt vmcnt(21)
	v_mul_f32_e32 v2, v1, v11
	v_mul_f32_e32 v3, v0, v11
	v_fmac_f32_e32 v2, v0, v10
	v_fma_f32 v3, v1, v10, -v3
	ds_write2_b64 v58, v[4:5], v[2:3] offset1:44
	s_waitcnt vmcnt(20)
	v_mul_f32_e32 v0, v19, v13
	v_mul_f32_e32 v1, v18, v13
	s_waitcnt vmcnt(16)
	v_mul_f32_e32 v2, v21, v17
	v_mul_f32_e32 v3, v20, v17
	v_fmac_f32_e32 v0, v18, v12
	v_fma_f32 v1, v19, v12, -v1
	v_fmac_f32_e32 v2, v20, v16
	v_fma_f32 v3, v21, v16, -v3
	ds_write2_b64 v58, v[0:1], v[2:3] offset0:88 offset1:132
	s_waitcnt vmcnt(14)
	v_mul_f32_e32 v0, v23, v27
	v_mul_f32_e32 v1, v22, v27
	s_waitcnt vmcnt(13)
	v_mul_f32_e32 v2, v15, v29
	v_mul_f32_e32 v3, v14, v29
	v_fmac_f32_e32 v0, v22, v26
	v_fma_f32 v1, v23, v26, -v1
	v_fmac_f32_e32 v2, v14, v28
	v_fma_f32 v3, v15, v28, -v3
	ds_write2_b64 v58, v[0:1], v[2:3] offset0:176 offset1:220
	s_waitcnt vmcnt(12)
	v_mul_f32_e32 v0, v25, v31
	v_mul_f32_e32 v1, v24, v31
	s_waitcnt vmcnt(9)
	v_mul_f32_e32 v2, v33, v37
	v_mul_f32_e32 v3, v32, v37
	v_fmac_f32_e32 v0, v24, v30
	v_fma_f32 v1, v25, v30, -v1
	v_fmac_f32_e32 v2, v32, v36
	v_fma_f32 v3, v33, v36, -v3
	v_add_u32_e32 v4, 0x800, v58
	ds_write2_b64 v4, v[0:1], v[2:3] offset0:8 offset1:52
	s_waitcnt vmcnt(7)
	v_mul_f32_e32 v0, v35, v41
	v_mul_f32_e32 v1, v34, v41
	s_waitcnt vmcnt(5)
	v_mul_f32_e32 v2, v39, v45
	v_mul_f32_e32 v3, v38, v45
	v_fmac_f32_e32 v0, v34, v40
	v_fma_f32 v1, v35, v40, -v1
	v_fmac_f32_e32 v2, v38, v44
	v_fma_f32 v3, v39, v44, -v3
	ds_write2_b64 v4, v[0:1], v[2:3] offset0:96 offset1:140
	s_waitcnt vmcnt(4)
	v_mul_f32_e32 v0, v43, v47
	v_mul_f32_e32 v1, v42, v47
	s_waitcnt vmcnt(2)
	v_mul_f32_e32 v2, v49, v51
	v_mul_f32_e32 v3, v48, v51
	v_fmac_f32_e32 v0, v42, v46
	v_fma_f32 v1, v43, v46, -v1
	v_fmac_f32_e32 v2, v48, v50
	v_fma_f32 v3, v49, v50, -v3
	ds_write2_b64 v4, v[0:1], v[2:3] offset0:184 offset1:228
	s_waitcnt vmcnt(0)
	v_mul_f32_e32 v0, v55, v53
	v_mul_f32_e32 v1, v54, v53
	v_fmac_f32_e32 v0, v54, v52
	v_fma_f32 v1, v55, v52, -v1
	ds_write_b64 v58, v[0:1] offset:4224
.LBB0_3:
	s_or_b64 exec, exec, s[2:3]
	s_load_dwordx2 s[2:3], s[0:1], 0x20
	s_load_dwordx2 s[6:7], s[0:1], 0x8
	v_mov_b64_e32 v[0:1], 0
	s_waitcnt lgkmcnt(0)
	; wave barrier
	s_waitcnt lgkmcnt(0)
                                        ; implicit-def: $vgpr6
                                        ; implicit-def: $vgpr12
                                        ; implicit-def: $vgpr10
                                        ; implicit-def: $vgpr20
                                        ; implicit-def: $vgpr18
                                        ; implicit-def: $vgpr50
	s_and_saveexec_b64 s[0:1], s[4:5]
	s_cbranch_execz .LBB0_5
; %bb.4:
	v_add_u32_e32 v20, 0x800, v58
	ds_read2_b64 v[0:3], v58 offset1:44
	ds_read2_b64 v[16:19], v58 offset0:88 offset1:132
	ds_read2_b64 v[8:11], v58 offset0:176 offset1:220
	;; [unrolled: 1-line block ×5, first 2 shown]
	ds_read_b64 v[50:51], v58 offset:4224
.LBB0_5:
	s_or_b64 exec, exec, s[0:1]
	s_waitcnt lgkmcnt(0)
	v_pk_add_f32 v[40:41], v[2:3], v[50:51] neg_lo:[0,1] neg_hi:[0,1]
	s_mov_b32 s0, 0xbeedf032
	v_pk_add_f32 v[38:39], v[50:51], v[2:3]
	v_pk_add_f32 v[36:37], v[16:17], v[22:23] neg_lo:[0,1] neg_hi:[0,1]
	s_mov_b32 s16, 0x3f62ad3f
	v_pk_mul_f32 v[34:35], v[40:41], s[0:1] op_sel_hi:[1,0]
	s_mov_b32 s26, 0xbf52af12
	v_pk_add_f32 v[32:33], v[22:23], v[16:17]
	v_pk_fma_f32 v[52:53], v[38:39], s[16:17], v[34:35] op_sel:[0,0,1] op_sel_hi:[1,0,0]
	v_pk_fma_f32 v[54:55], v[38:39], s[16:17], v[34:35] op_sel:[0,0,1] op_sel_hi:[1,0,0] neg_lo:[0,0,1] neg_hi:[0,0,1]
	s_mov_b32 s10, 0x3f116cb1
	v_pk_mul_f32 v[42:43], v[36:37], s[26:27] op_sel_hi:[1,0]
	v_mov_b32_e32 v34, v52
	v_mov_b32_e32 v35, v55
	v_pk_fma_f32 v[56:57], v[32:33], s[10:11], v[42:43] op_sel:[0,0,1] op_sel_hi:[1,0,0]
	v_pk_fma_f32 v[62:63], v[32:33], s[10:11], v[42:43] op_sel:[0,0,1] op_sel_hi:[1,0,0] neg_lo:[0,0,1] neg_hi:[0,0,1]
	v_pk_add_f32 v[30:31], v[18:19], v[20:21] neg_lo:[0,1] neg_hi:[0,1]
	v_pk_add_f32 v[34:35], v[34:35], v[0:1]
	v_mov_b32_e32 v42, v56
	v_mov_b32_e32 v43, v63
	s_mov_b32 s38, 0xbf7e222b
	v_pk_add_f32 v[28:29], v[20:21], v[18:19]
	v_pk_add_f32 v[34:35], v[42:43], v[34:35]
	s_mov_b32 s0, 0x3df6dbef
	v_pk_mul_f32 v[42:43], v[30:31], s[38:39] op_sel_hi:[1,0]
	v_pk_add_f32 v[26:27], v[8:9], v[14:15] neg_lo:[0,1] neg_hi:[0,1]
	v_pk_fma_f32 v[66:67], v[28:29], s[0:1], v[42:43] op_sel:[0,0,1] op_sel_hi:[1,0,0]
	v_pk_fma_f32 v[68:69], v[28:29], s[0:1], v[42:43] op_sel:[0,0,1] op_sel_hi:[1,0,0] neg_lo:[0,0,1] neg_hi:[0,0,1]
	v_mov_b32_e32 v42, v66
	v_mov_b32_e32 v43, v69
	s_mov_b32 s20, 0xbf6f5d39
	v_pk_add_f32 v[24:25], v[14:15], v[8:9]
	v_pk_add_f32 v[34:35], v[42:43], v[34:35]
	s_mov_b32 s18, 0xbeb58ec6
	v_pk_mul_f32 v[42:43], v[26:27], s[20:21] op_sel_hi:[1,0]
	s_mov_b32 s24, 0xbf29c268
	v_pk_fma_f32 v[70:71], v[24:25], s[18:19], v[42:43] op_sel:[0,0,1] op_sel_hi:[1,0,0]
	v_pk_fma_f32 v[72:73], v[24:25], s[18:19], v[42:43] op_sel:[0,0,1] op_sel_hi:[1,0,0] neg_lo:[0,0,1] neg_hi:[0,0,1]
	v_mov_b32_e32 v42, v70
	v_mov_b32_e32 v43, v73
	v_pk_add_f32 v[44:45], v[10:11], v[12:13] neg_lo:[0,1] neg_hi:[0,1]
	v_pk_add_f32 v[34:35], v[42:43], v[34:35]
	s_mov_b32 s22, 0xbf3f9e67
	v_pk_add_f32 v[42:43], v[12:13], v[10:11]
	v_pk_mul_f32 v[46:47], v[44:45], s[24:25] op_sel_hi:[1,0]
	s_mov_b32 s30, 0xbe750f2a
	v_pk_fma_f32 v[74:75], v[42:43], s[22:23], v[46:47] op_sel:[0,0,1] op_sel_hi:[1,0,0]
	v_pk_fma_f32 v[76:77], v[42:43], s[22:23], v[46:47] op_sel:[0,0,1] op_sel_hi:[1,0,0] neg_lo:[0,0,1] neg_hi:[0,0,1]
	v_mov_b32_e32 v46, v74
	v_mov_b32_e32 v47, v77
	v_pk_add_f32 v[48:49], v[4:5], v[6:7] neg_lo:[0,1] neg_hi:[0,1]
	v_pk_add_f32 v[34:35], v[46:47], v[34:35]
	s_mov_b32 s28, 0xbf788fa5
	v_pk_add_f32 v[46:47], v[6:7], v[4:5]
	v_pk_mul_f32 v[64:65], v[48:49], s[30:31] op_sel_hi:[1,0]
	v_pk_mul_f32 v[84:85], v[36:37], s[20:21] op_sel_hi:[1,0]
	v_pk_fma_f32 v[86:87], v[46:47], s[28:29], v[64:65] op_sel:[0,0,1] op_sel_hi:[1,0,0]
	v_pk_fma_f32 v[88:89], v[46:47], s[28:29], v[64:65] op_sel:[0,0,1] op_sel_hi:[1,0,0] neg_lo:[0,0,1] neg_hi:[0,0,1]
	v_mov_b32_e32 v64, v86
	v_mov_b32_e32 v65, v89
	v_pk_add_f32 v[64:65], v[64:65], v[34:35]
	v_pk_mul_f32 v[34:35], v[40:41], s[26:27] op_sel_hi:[1,0]
	v_pk_fma_f32 v[82:83], v[32:33], s[18:19], v[84:85] op_sel:[0,0,1] op_sel_hi:[1,0,0]
	v_pk_fma_f32 v[78:79], v[38:39], s[10:11], v[34:35] op_sel:[0,0,1] op_sel_hi:[1,0,0]
	v_pk_fma_f32 v[80:81], v[38:39], s[10:11], v[34:35] op_sel:[0,0,1] op_sel_hi:[1,0,0] neg_lo:[0,0,1] neg_hi:[0,0,1]
	v_mov_b32_e32 v34, v78
	v_mov_b32_e32 v35, v81
	v_pk_fma_f32 v[84:85], v[32:33], s[18:19], v[84:85] op_sel:[0,0,1] op_sel_hi:[1,0,0] neg_lo:[0,0,1] neg_hi:[0,0,1]
	v_mov_b32_e32 v90, v82
	v_mov_b32_e32 v91, v85
	v_pk_add_f32 v[34:35], v[34:35], v[0:1]
	v_pk_mul_f32 v[92:93], v[30:31], s[30:31] op_sel_hi:[1,0]
	v_pk_add_f32 v[34:35], v[90:91], v[34:35]
	v_pk_fma_f32 v[90:91], v[28:29], s[28:29], v[92:93] op_sel:[0,0,1] op_sel_hi:[1,0,0]
	v_pk_fma_f32 v[92:93], v[28:29], s[28:29], v[92:93] op_sel:[0,0,1] op_sel_hi:[1,0,0] neg_lo:[0,0,1] neg_hi:[0,0,1]
	s_mov_b32 s40, 0x3f29c268
	v_mov_b32_e32 v94, v90
	v_mov_b32_e32 v95, v93
	v_pk_mul_f32 v[96:97], v[26:27], s[40:41] op_sel_hi:[1,0]
	v_pk_add_f32 v[34:35], v[94:95], v[34:35]
	v_pk_fma_f32 v[94:95], v[24:25], s[22:23], v[96:97] op_sel:[0,0,1] op_sel_hi:[1,0,0]
	v_pk_fma_f32 v[96:97], v[24:25], s[22:23], v[96:97] op_sel:[0,0,1] op_sel_hi:[1,0,0] neg_lo:[0,0,1] neg_hi:[0,0,1]
	s_mov_b32 s34, 0x3f7e222b
	v_mov_b32_e32 v98, v94
	v_mov_b32_e32 v99, v97
	;; [unrolled: 7-line block ×3, first 2 shown]
	v_pk_mul_f32 v[104:105], v[48:49], s[36:37] op_sel_hi:[1,0]
	v_pk_add_f32 v[34:35], v[102:103], v[34:35]
	v_pk_fma_f32 v[102:103], v[46:47], s[16:17], v[104:105] op_sel:[0,0,1] op_sel_hi:[1,0,0]
	v_pk_fma_f32 v[104:105], v[46:47], s[16:17], v[104:105] op_sel:[0,0,1] op_sel_hi:[1,0,0] neg_lo:[0,0,1] neg_hi:[0,0,1]
	v_mov_b32_e32 v106, v102
	v_mov_b32_e32 v107, v105
	v_pk_add_f32 v[34:35], v[106:107], v[34:35]
	v_mul_lo_u16_e32 v137, 13, v61
	s_waitcnt lgkmcnt(0)
	; wave barrier
	s_and_saveexec_b64 s[8:9], s[4:5]
	s_cbranch_execz .LBB0_7
; %bb.6:
	v_pk_add_f32 v[2:3], v[2:3], v[0:1]
	v_mov_b32_e32 v55, v53
	v_pk_add_f32 v[2:3], v[16:17], v[2:3]
	v_mov_b32_e32 v63, v57
	;; [unrolled: 2-line block ×5, first 2 shown]
	v_pk_add_f32 v[2:3], v[4:5], v[2:3]
	v_pk_add_f32 v[4:5], v[54:55], v[0:1]
	;; [unrolled: 1-line block ×11, first 2 shown]
	v_mov_b32_e32 v89, v87
	v_lshlrev_b32_e32 v59, 3, v137
	v_pk_add_f32 v[2:3], v[50:51], v[2:3]
	v_pk_add_f32 v[4:5], v[88:89], v[4:5]
	ds_write2_b64 v59, v[2:3], v[4:5] offset1:1
	v_pk_mul_f32 v[4:5], v[40:41], s[38:39] op_sel_hi:[1,0]
	v_pk_mul_f32 v[6:7], v[36:37], s[30:31] op_sel_hi:[1,0]
	v_pk_fma_f32 v[16:17], v[38:39], s[0:1], v[4:5] op_sel:[0,0,1] op_sel_hi:[1,0,0] neg_lo:[0,0,1] neg_hi:[0,0,1]
	v_pk_fma_f32 v[4:5], v[38:39], s[0:1], v[4:5] op_sel:[0,0,1] op_sel_hi:[1,0,0]
	s_mov_b32 s42, 0x3f6f5d39
	v_mov_b32_e32 v18, v16
	v_mov_b32_e32 v19, v5
	v_pk_fma_f32 v[20:21], v[32:33], s[28:29], v[6:7] op_sel:[0,0,1] op_sel_hi:[1,0,0] neg_lo:[0,0,1] neg_hi:[0,0,1]
	v_pk_fma_f32 v[6:7], v[32:33], s[28:29], v[6:7] op_sel:[0,0,1] op_sel_hi:[1,0,0]
	v_pk_mul_f32 v[8:9], v[30:31], s[42:43] op_sel_hi:[1,0]
	v_pk_add_f32 v[18:19], v[18:19], v[0:1]
	v_mov_b32_e32 v22, v20
	v_mov_b32_e32 v23, v7
	v_pk_add_f32 v[18:19], v[22:23], v[18:19]
	v_pk_fma_f32 v[22:23], v[28:29], s[18:19], v[8:9] op_sel:[0,0,1] op_sel_hi:[1,0,0] neg_lo:[0,0,1] neg_hi:[0,0,1]
	v_pk_fma_f32 v[8:9], v[28:29], s[18:19], v[8:9] op_sel:[0,0,1] op_sel_hi:[1,0,0]
	v_pk_mul_f32 v[10:11], v[26:27], s[36:37] op_sel_hi:[1,0]
	v_mov_b32_e32 v50, v22
	v_mov_b32_e32 v51, v9
	;; [unrolled: 1-line block ×3, first 2 shown]
	v_pk_add_f32 v[18:19], v[50:51], v[18:19]
	v_pk_fma_f32 v[50:51], v[24:25], s[16:17], v[10:11] op_sel:[0,0,1] op_sel_hi:[1,0,0] neg_lo:[0,0,1] neg_hi:[0,0,1]
	v_pk_fma_f32 v[10:11], v[24:25], s[16:17], v[10:11] op_sel:[0,0,1] op_sel_hi:[1,0,0]
	v_pk_add_f32 v[2:3], v[80:81], v[0:1]
	v_mov_b32_e32 v85, v83
	v_pk_mul_f32 v[12:13], v[44:45], s[26:27] op_sel_hi:[1,0]
	v_mov_b32_e32 v52, v50
	v_mov_b32_e32 v53, v11
	v_pk_add_f32 v[2:3], v[84:85], v[2:3]
	v_mov_b32_e32 v93, v91
	v_pk_add_f32 v[18:19], v[52:53], v[18:19]
	v_pk_fma_f32 v[52:53], v[42:43], s[10:11], v[12:13] op_sel:[0,0,1] op_sel_hi:[1,0,0] neg_lo:[0,0,1] neg_hi:[0,0,1]
	v_pk_fma_f32 v[12:13], v[42:43], s[10:11], v[12:13] op_sel:[0,0,1] op_sel_hi:[1,0,0]
	v_pk_add_f32 v[2:3], v[92:93], v[2:3]
	v_mov_b32_e32 v97, v95
	v_pk_mul_f32 v[14:15], v[48:49], s[24:25] op_sel_hi:[1,0]
	v_mov_b32_e32 v54, v52
	v_mov_b32_e32 v55, v13
	v_pk_add_f32 v[2:3], v[96:97], v[2:3]
	v_mov_b32_e32 v101, v99
	v_pk_add_f32 v[18:19], v[54:55], v[18:19]
	v_pk_fma_f32 v[54:55], v[46:47], s[22:23], v[14:15] op_sel:[0,0,1] op_sel_hi:[1,0,0] neg_lo:[0,0,1] neg_hi:[0,0,1]
	v_pk_fma_f32 v[14:15], v[46:47], s[22:23], v[14:15] op_sel:[0,0,1] op_sel_hi:[1,0,0]
	v_pk_add_f32 v[2:3], v[100:101], v[2:3]
	v_mov_b32_e32 v105, v103
	v_mov_b32_e32 v56, v54
	;; [unrolled: 1-line block ×3, first 2 shown]
	v_pk_add_f32 v[2:3], v[104:105], v[2:3]
	v_pk_add_f32 v[18:19], v[56:57], v[18:19]
	ds_write2_b64 v59, v[2:3], v[18:19] offset0:2 offset1:3
	v_pk_mul_f32 v[2:3], v[40:41], s[20:21] op_sel_hi:[1,0]
	v_pk_mul_f32 v[18:19], v[36:37], s[40:41] op_sel_hi:[1,0]
	v_pk_fma_f32 v[70:71], v[38:39], s[18:19], v[2:3] op_sel:[0,0,1] op_sel_hi:[1,0,0] neg_lo:[0,0,1] neg_hi:[0,0,1]
	v_pk_fma_f32 v[2:3], v[38:39], s[18:19], v[2:3] op_sel:[0,0,1] op_sel_hi:[1,0,0]
	v_mov_b32_e32 v72, v70
	v_mov_b32_e32 v73, v3
	v_pk_fma_f32 v[74:75], v[32:33], s[22:23], v[18:19] op_sel:[0,0,1] op_sel_hi:[1,0,0] neg_lo:[0,0,1] neg_hi:[0,0,1]
	v_pk_fma_f32 v[18:19], v[32:33], s[22:23], v[18:19] op_sel:[0,0,1] op_sel_hi:[1,0,0]
	v_pk_mul_f32 v[56:57], v[30:31], s[36:37] op_sel_hi:[1,0]
	v_pk_add_f32 v[72:73], v[72:73], v[0:1]
	v_mov_b32_e32 v76, v74
	v_mov_b32_e32 v77, v19
	v_pk_add_f32 v[72:73], v[76:77], v[72:73]
	v_pk_fma_f32 v[76:77], v[28:29], s[16:17], v[56:57] op_sel:[0,0,1] op_sel_hi:[1,0,0] neg_lo:[0,0,1] neg_hi:[0,0,1]
	v_pk_fma_f32 v[56:57], v[28:29], s[16:17], v[56:57] op_sel:[0,0,1] op_sel_hi:[1,0,0]
	v_pk_mul_f32 v[62:63], v[26:27], s[38:39] op_sel_hi:[1,0]
	v_mov_b32_e32 v78, v76
	v_mov_b32_e32 v79, v57
	s_mov_b32 s40, 0x3e750f2a
	v_pk_add_f32 v[72:73], v[78:79], v[72:73]
	v_pk_fma_f32 v[78:79], v[24:25], s[0:1], v[62:63] op_sel:[0,0,1] op_sel_hi:[1,0,0] neg_lo:[0,0,1] neg_hi:[0,0,1]
	v_pk_fma_f32 v[62:63], v[24:25], s[0:1], v[62:63] op_sel:[0,0,1] op_sel_hi:[1,0,0]
	v_pk_mul_f32 v[66:67], v[44:45], s[40:41] op_sel_hi:[1,0]
	v_mov_b32_e32 v80, v78
	v_mov_b32_e32 v81, v63
	s_mov_b32 s38, 0x3f52af12
	v_pk_add_f32 v[72:73], v[80:81], v[72:73]
	v_pk_fma_f32 v[80:81], v[42:43], s[28:29], v[66:67] op_sel:[0,0,1] op_sel_hi:[1,0,0] neg_lo:[0,0,1] neg_hi:[0,0,1]
	v_pk_fma_f32 v[66:67], v[42:43], s[28:29], v[66:67] op_sel:[0,0,1] op_sel_hi:[1,0,0]
	v_pk_mul_f32 v[68:69], v[48:49], s[38:39] op_sel_hi:[1,0]
	v_mov_b32_e32 v82, v80
	v_mov_b32_e32 v83, v67
	v_pk_add_f32 v[72:73], v[82:83], v[72:73]
	v_pk_fma_f32 v[82:83], v[46:47], s[10:11], v[68:69] op_sel:[0,0,1] op_sel_hi:[1,0,0] neg_lo:[0,0,1] neg_hi:[0,0,1]
	v_pk_fma_f32 v[68:69], v[46:47], s[10:11], v[68:69] op_sel:[0,0,1] op_sel_hi:[1,0,0]
	v_mov_b32_e32 v84, v82
	v_mov_b32_e32 v85, v69
	v_pk_add_f32 v[72:73], v[84:85], v[72:73]
	v_pk_mul_f32 v[84:85], v[40:41], s[24:25] op_sel_hi:[1,0]
	v_pk_mul_f32 v[90:91], v[36:37], s[34:35] op_sel_hi:[1,0]
	v_pk_fma_f32 v[86:87], v[38:39], s[22:23], v[84:85] op_sel:[0,0,1] op_sel_hi:[1,0,0] neg_lo:[0,0,1] neg_hi:[0,0,1]
	v_pk_fma_f32 v[84:85], v[38:39], s[22:23], v[84:85] op_sel:[0,0,1] op_sel_hi:[1,0,0]
	v_mov_b32_e32 v88, v86
	v_mov_b32_e32 v89, v85
	v_pk_fma_f32 v[92:93], v[32:33], s[0:1], v[90:91] op_sel:[0,0,1] op_sel_hi:[1,0,0] neg_lo:[0,0,1] neg_hi:[0,0,1]
	v_pk_fma_f32 v[90:91], v[32:33], s[0:1], v[90:91] op_sel:[0,0,1] op_sel_hi:[1,0,0]
	v_pk_add_f32 v[88:89], v[88:89], v[0:1]
	v_mov_b32_e32 v94, v92
	v_mov_b32_e32 v95, v91
	v_pk_add_f32 v[88:89], v[94:95], v[88:89]
	v_pk_mul_f32 v[94:95], v[30:31], s[26:27] op_sel_hi:[1,0]
	v_pk_mul_f32 v[40:41], v[40:41], s[30:31] op_sel_hi:[1,0]
	v_pk_fma_f32 v[96:97], v[28:29], s[10:11], v[94:95] op_sel:[0,0,1] op_sel_hi:[1,0,0] neg_lo:[0,0,1] neg_hi:[0,0,1]
	v_pk_fma_f32 v[94:95], v[28:29], s[10:11], v[94:95] op_sel:[0,0,1] op_sel_hi:[1,0,0]
	v_mov_b32_e32 v98, v96
	v_mov_b32_e32 v99, v95
	v_pk_add_f32 v[88:89], v[98:99], v[88:89]
	v_pk_mul_f32 v[98:99], v[26:27], s[40:41] op_sel_hi:[1,0]
	v_pk_mul_f32 v[36:37], v[36:37], s[36:37] op_sel_hi:[1,0]
	v_pk_fma_f32 v[100:101], v[24:25], s[28:29], v[98:99] op_sel:[0,0,1] op_sel_hi:[1,0,0] neg_lo:[0,0,1] neg_hi:[0,0,1]
	v_pk_fma_f32 v[98:99], v[24:25], s[28:29], v[98:99] op_sel:[0,0,1] op_sel_hi:[1,0,0]
	v_mov_b32_e32 v102, v100
	v_mov_b32_e32 v103, v99
	v_pk_add_f32 v[88:89], v[102:103], v[88:89]
	v_pk_mul_f32 v[102:103], v[44:45], s[36:37] op_sel_hi:[1,0]
	v_pk_mul_f32 v[30:31], v[30:31], s[24:25] op_sel_hi:[1,0]
	v_pk_fma_f32 v[104:105], v[42:43], s[16:17], v[102:103] op_sel:[0,0,1] op_sel_hi:[1,0,0] neg_lo:[0,0,1] neg_hi:[0,0,1]
	v_pk_fma_f32 v[102:103], v[42:43], s[16:17], v[102:103] op_sel:[0,0,1] op_sel_hi:[1,0,0]
	v_mov_b32_e32 v106, v104
	v_mov_b32_e32 v107, v103
	v_pk_add_f32 v[88:89], v[106:107], v[88:89]
	v_pk_mul_f32 v[106:107], v[48:49], s[20:21] op_sel_hi:[1,0]
	v_pk_mul_f32 v[26:27], v[26:27], s[38:39] op_sel_hi:[1,0]
	v_pk_fma_f32 v[108:109], v[46:47], s[18:19], v[106:107] op_sel:[0,0,1] op_sel_hi:[1,0,0] neg_lo:[0,0,1] neg_hi:[0,0,1]
	v_pk_fma_f32 v[106:107], v[46:47], s[18:19], v[106:107] op_sel:[0,0,1] op_sel_hi:[1,0,0]
	v_mov_b32_e32 v110, v108
	v_mov_b32_e32 v111, v107
	v_pk_add_f32 v[88:89], v[110:111], v[88:89]
	ds_write2_b64 v59, v[72:73], v[88:89] offset0:4 offset1:5
	v_pk_fma_f32 v[72:73], v[38:39], s[28:29], v[40:41] op_sel:[0,0,1] op_sel_hi:[1,0,0] neg_lo:[0,0,1] neg_hi:[0,0,1]
	v_pk_fma_f32 v[38:39], v[38:39], s[28:29], v[40:41] op_sel:[0,0,1] op_sel_hi:[1,0,0]
	v_pk_fma_f32 v[40:41], v[32:33], s[16:17], v[36:37] op_sel:[0,0,1] op_sel_hi:[1,0,0] neg_lo:[0,0,1] neg_hi:[0,0,1]
	v_pk_fma_f32 v[32:33], v[32:33], s[16:17], v[36:37] op_sel:[0,0,1] op_sel_hi:[1,0,0]
	v_mov_b32_e32 v36, v72
	v_mov_b32_e32 v37, v39
	v_pk_add_f32 v[36:37], v[36:37], v[0:1]
	v_mov_b32_e32 v88, v40
	v_mov_b32_e32 v89, v33
	v_pk_add_f32 v[36:37], v[88:89], v[36:37]
	v_pk_fma_f32 v[88:89], v[28:29], s[22:23], v[30:31] op_sel:[0,0,1] op_sel_hi:[1,0,0] neg_lo:[0,0,1] neg_hi:[0,0,1]
	v_pk_fma_f32 v[28:29], v[28:29], s[22:23], v[30:31] op_sel:[0,0,1] op_sel_hi:[1,0,0]
	v_mov_b32_e32 v30, v88
	v_mov_b32_e32 v31, v29
	v_pk_add_f32 v[30:31], v[30:31], v[36:37]
	v_pk_fma_f32 v[36:37], v[24:25], s[10:11], v[26:27] op_sel:[0,0,1] op_sel_hi:[1,0,0] neg_lo:[0,0,1] neg_hi:[0,0,1]
	v_pk_fma_f32 v[24:25], v[24:25], s[10:11], v[26:27] op_sel:[0,0,1] op_sel_hi:[1,0,0]
	v_mov_b32_e32 v26, v36
	v_mov_b32_e32 v27, v25
	v_pk_add_f32 v[26:27], v[26:27], v[30:31]
	v_pk_mul_f32 v[30:31], v[44:45], s[20:21] op_sel_hi:[1,0]
	v_mov_b32_e32 v39, v73
	v_pk_fma_f32 v[44:45], v[42:43], s[18:19], v[30:31] op_sel:[0,0,1] op_sel_hi:[1,0,0] neg_lo:[0,0,1] neg_hi:[0,0,1]
	v_pk_fma_f32 v[30:31], v[42:43], s[18:19], v[30:31] op_sel:[0,0,1] op_sel_hi:[1,0,0]
	v_mov_b32_e32 v33, v41
	v_pk_add_f32 v[38:39], v[38:39], v[0:1]
	v_mov_b32_e32 v42, v44
	v_mov_b32_e32 v43, v31
	v_pk_add_f32 v[32:33], v[32:33], v[38:39]
	v_mov_b32_e32 v29, v89
	v_pk_add_f32 v[26:27], v[42:43], v[26:27]
	v_pk_mul_f32 v[42:43], v[48:49], s[34:35] op_sel_hi:[1,0]
	v_pk_add_f32 v[28:29], v[28:29], v[32:33]
	v_mov_b32_e32 v25, v37
	v_pk_fma_f32 v[48:49], v[46:47], s[0:1], v[42:43] op_sel:[0,0,1] op_sel_hi:[1,0,0] neg_lo:[0,0,1] neg_hi:[0,0,1]
	v_pk_fma_f32 v[42:43], v[46:47], s[0:1], v[42:43] op_sel:[0,0,1] op_sel_hi:[1,0,0]
	v_pk_add_f32 v[24:25], v[24:25], v[28:29]
	v_mov_b32_e32 v31, v45
	v_mov_b32_e32 v46, v48
	;; [unrolled: 1-line block ×3, first 2 shown]
	v_pk_add_f32 v[24:25], v[30:31], v[24:25]
	v_mov_b32_e32 v43, v49
	v_pk_add_f32 v[26:27], v[46:47], v[26:27]
	v_pk_add_f32 v[24:25], v[42:43], v[24:25]
	v_mov_b32_e32 v85, v87
	v_mov_b32_e32 v3, v71
	;; [unrolled: 1-line block ×3, first 2 shown]
	ds_write2_b64 v59, v[26:27], v[24:25] offset0:6 offset1:7
	v_pk_add_f32 v[24:25], v[84:85], v[0:1]
	v_mov_b32_e32 v91, v93
	v_pk_add_f32 v[2:3], v[2:3], v[0:1]
	v_mov_b32_e32 v19, v75
	;; [unrolled: 2-line block ×15, first 2 shown]
	v_pk_add_f32 v[24:25], v[106:107], v[24:25]
	v_pk_add_f32 v[2:3], v[68:69], v[2:3]
	;; [unrolled: 1-line block ×3, first 2 shown]
	ds_write2_b64 v59, v[24:25], v[2:3] offset0:8 offset1:9
	ds_write2_b64 v59, v[0:1], v[34:35] offset0:10 offset1:11
	ds_write_b64 v59, v[64:65] offset:96
.LBB0_7:
	s_or_b64 exec, exec, s[8:9]
	s_movk_i32 s0, 0x4f
	v_mul_lo_u16_sdwa v0, v61, s0 dst_sel:DWORD dst_unused:UNUSED_PAD src0_sel:BYTE_0 src1_sel:DWORD
	v_lshrrev_b16_e32 v94, 10, v0
	v_mul_lo_u16_e32 v0, 13, v94
	v_sub_u16_e32 v0, v61, v0
	v_and_b32_e32 v95, 0xff, v0
	v_mul_u32_u24_e32 v0, 10, v95
	v_lshlrev_b32_e32 v20, 3, v0
	s_load_dwordx4 s[8:11], s[2:3], 0x0
	s_waitcnt lgkmcnt(0)
	; wave barrier
	s_waitcnt lgkmcnt(0)
	global_load_dwordx4 v[16:19], v20, s[6:7]
	global_load_dwordx4 v[12:15], v20, s[6:7] offset:16
	global_load_dwordx4 v[4:7], v20, s[6:7] offset:48
	;; [unrolled: 1-line block ×4, first 2 shown]
	ds_read2_b64 v[20:23], v58 offset1:52
	ds_read2_b64 v[24:27], v58 offset0:104 offset1:156
	v_add_u32_e32 v59, 0x800, v58
	ds_read_b64 v[32:33], v58 offset:4160
	v_add_u32_e32 v36, 0x400, v58
	ds_read2_b64 v[28:31], v59 offset0:160 offset1:212
	ds_read2_b64 v[36:39], v36 offset0:80 offset1:132
	;; [unrolled: 1-line block ×3, first 2 shown]
	s_mov_b32 s20, 0xbf0a6770
	s_mov_b32 s0, 0x3f575c64
	;; [unrolled: 1-line block ×13, first 2 shown]
	s_waitcnt lgkmcnt(0)
	; wave barrier
	s_waitcnt vmcnt(4) lgkmcnt(0)
	v_pk_mul_f32 v[44:45], v[22:23], v[16:17] op_sel:[0,1]
	v_mov_b32_e32 v46, v19
	s_waitcnt vmcnt(3)
	v_pk_mul_f32 v[48:49], v[26:27], v[12:13] op_sel:[0,1]
	s_waitcnt vmcnt(2)
	v_mov_b32_e32 v50, v7
	s_waitcnt vmcnt(1)
	v_pk_mul_f32 v[52:53], v[30:31], v[0:1] op_sel:[0,1]
	v_mov_b32_e32 v54, v3
	v_pk_fma_f32 v[70:71], v[22:23], v[16:17], v[44:45] op_sel:[0,0,1] op_sel_hi:[1,1,0] neg_lo:[0,0,1] neg_hi:[0,0,1]
	v_pk_fma_f32 v[22:23], v[22:23], v[16:17], v[44:45] op_sel:[0,0,1] op_sel_hi:[1,0,0]
	v_pk_mul_f32 v[44:45], v[24:25], v[46:47] op_sel_hi:[1,0]
	v_pk_fma_f32 v[46:47], v[26:27], v[12:13], v[48:49] op_sel:[0,0,1] op_sel_hi:[1,1,0] neg_lo:[0,0,1] neg_hi:[0,0,1]
	v_pk_fma_f32 v[26:27], v[26:27], v[12:13], v[48:49] op_sel:[0,0,1] op_sel_hi:[1,0,0]
	v_pk_mul_f32 v[48:49], v[28:29], v[50:51] op_sel_hi:[1,0]
	;; [unrolled: 3-line block ×3, first 2 shown]
	v_mov_b32_e32 v56, v15
	s_waitcnt vmcnt(0)
	v_pk_mul_f32 v[62:63], v[38:39], v[8:9] op_sel:[0,1]
	v_mov_b32_e32 v66, v11
	v_mov_b32_e32 v51, v31
	v_pk_fma_f32 v[30:31], v[32:33], v[2:3], v[52:53] op_sel:[0,0,1] op_sel_hi:[1,1,0] neg_lo:[0,0,1] neg_hi:[0,0,1]
	v_pk_fma_f32 v[32:33], v[32:33], v[2:3], v[52:53] op_sel:[0,0,1] op_sel_hi:[1,0,0]
	v_pk_mul_f32 v[68:69], v[42:43], v[4:5] op_sel:[0,1]
	v_pk_mul_f32 v[54:55], v[36:37], v[56:57] op_sel_hi:[1,0]
	v_pk_fma_f32 v[56:57], v[38:39], v[8:9], v[62:63] op_sel:[0,0,1] op_sel_hi:[1,1,0] neg_lo:[0,0,1] neg_hi:[0,0,1]
	v_pk_fma_f32 v[38:39], v[38:39], v[8:9], v[62:63] op_sel:[0,0,1] op_sel_hi:[1,0,0]
	v_pk_mul_f32 v[62:63], v[40:41], v[66:67] op_sel_hi:[1,0]
	v_mov_b32_e32 v71, v23
	v_pk_fma_f32 v[22:23], v[24:25], v[18:19], v[44:45] op_sel:[0,0,1] op_sel_hi:[1,1,0] neg_lo:[0,0,1] neg_hi:[0,0,1]
	v_pk_fma_f32 v[24:25], v[24:25], v[18:19], v[44:45] op_sel:[0,0,1] op_sel_hi:[1,0,0]
	v_mov_b32_e32 v47, v27
	v_pk_fma_f32 v[26:27], v[28:29], v[6:7], v[48:49] op_sel:[0,0,1] op_sel_hi:[1,1,0] neg_lo:[0,0,1] neg_hi:[0,0,1]
	v_pk_fma_f32 v[28:29], v[28:29], v[6:7], v[48:49] op_sel:[0,0,1] op_sel_hi:[1,0,0]
	;; [unrolled: 3-line block ×4, first 2 shown]
	v_mov_b32_e32 v23, v25
	v_mov_b32_e32 v27, v29
	v_pk_add_f32 v[24:25], v[70:71], v[30:31]
	v_pk_add_f32 v[28:29], v[70:71], v[30:31] neg_lo:[0,1] neg_hi:[0,1]
	v_pk_add_f32 v[70:71], v[20:21], v[70:71]
	v_pk_fma_f32 v[44:45], v[36:37], v[14:15], v[54:55] op_sel:[0,0,1] op_sel_hi:[1,1,0] neg_lo:[0,0,1] neg_hi:[0,0,1]
	v_pk_fma_f32 v[36:37], v[36:37], v[14:15], v[54:55] op_sel:[0,0,1] op_sel_hi:[1,0,0]
	v_mov_b32_e32 v67, v43
	v_mov_b32_e32 v39, v41
	v_pk_add_f32 v[40:41], v[22:23], v[50:51]
	v_pk_add_f32 v[42:43], v[22:23], v[50:51] neg_lo:[0,1] neg_hi:[0,1]
	v_pk_add_f32 v[22:23], v[70:71], v[22:23]
	v_mov_b32_e32 v45, v37
	v_pk_mul_f32 v[32:33], v[28:29], s[20:21] op_sel:[1,0] op_sel_hi:[0,0]
	v_pk_add_f32 v[22:23], v[22:23], v[46:47]
	v_pk_add_f32 v[52:53], v[46:47], v[26:27] neg_lo:[0,1] neg_hi:[0,1]
	v_pk_mul_f32 v[36:37], v[42:43], s[30:31] op_sel:[1,0] op_sel_hi:[0,0]
	v_pk_fma_f32 v[62:63], v[24:25], s[0:1], v[32:33] op_sel_hi:[1,0,1]
	v_pk_fma_f32 v[68:69], v[24:25], s[0:1], v[32:33] op_sel_hi:[1,0,1] neg_lo:[0,0,1] neg_hi:[0,0,1]
	v_pk_add_f32 v[22:23], v[22:23], v[44:45]
	v_pk_add_f32 v[48:49], v[46:47], v[26:27]
	v_pk_mul_f32 v[54:55], v[52:53], s[18:19] op_sel:[1,0] op_sel_hi:[0,0]
	v_pk_fma_f32 v[72:73], v[40:41], s[2:3], v[36:37] op_sel_hi:[1,0,1]
	v_pk_fma_f32 v[36:37], v[40:41], s[2:3], v[36:37] op_sel_hi:[1,0,1] neg_lo:[0,0,1] neg_hi:[0,0,1]
	v_mov_b32_e32 v32, v62
	v_mov_b32_e32 v33, v69
	v_pk_add_f32 v[22:23], v[22:23], v[56:57]
	v_pk_fma_f32 v[74:75], v[48:49], s[16:17], v[54:55] op_sel_hi:[1,0,1]
	v_pk_fma_f32 v[54:55], v[48:49], s[16:17], v[54:55] op_sel_hi:[1,0,1] neg_lo:[0,0,1] neg_hi:[0,0,1]
	v_mov_b32_e32 v76, v72
	v_mov_b32_e32 v77, v37
	v_pk_add_f32 v[32:33], v[20:21], v[32:33]
	v_pk_add_f32 v[22:23], v[22:23], v[38:39]
	v_mov_b32_e32 v78, v74
	v_mov_b32_e32 v79, v55
	v_pk_add_f32 v[32:33], v[76:77], v[32:33]
	v_pk_add_f32 v[22:23], v[22:23], v[66:67]
	v_pk_add_f32 v[32:33], v[78:79], v[32:33]
	v_pk_add_f32 v[78:79], v[44:45], v[66:67] neg_lo:[0,1] neg_hi:[0,1]
	v_pk_add_f32 v[22:23], v[22:23], v[26:27]
	v_pk_add_f32 v[76:77], v[44:45], v[66:67]
	;; [unrolled: 1-line block ×3, first 2 shown]
	v_pk_mul_f32 v[26:27], v[78:79], s[24:25] op_sel:[1,0] op_sel_hi:[0,0]
	v_pk_add_f32 v[22:23], v[22:23], v[30:31]
	v_pk_fma_f32 v[30:31], v[76:77], s[22:23], v[26:27] op_sel_hi:[1,0,1]
	v_pk_fma_f32 v[26:27], v[76:77], s[22:23], v[26:27] op_sel_hi:[1,0,1] neg_lo:[0,0,1] neg_hi:[0,0,1]
	v_pk_add_f32 v[80:81], v[56:57], v[38:39]
	v_pk_add_f32 v[82:83], v[56:57], v[38:39] neg_lo:[0,1] neg_hi:[0,1]
	v_mov_b32_e32 v38, v30
	v_mov_b32_e32 v39, v27
	v_pk_add_f32 v[32:33], v[38:39], v[32:33]
	v_pk_mul_f32 v[38:39], v[82:83], s[28:29] op_sel:[1,0] op_sel_hi:[0,0]
	v_pk_fma_f32 v[44:45], v[80:81], s[26:27], v[38:39] op_sel_hi:[1,0,1]
	v_pk_fma_f32 v[38:39], v[80:81], s[26:27], v[38:39] op_sel_hi:[1,0,1] neg_lo:[0,0,1] neg_hi:[0,0,1]
	v_mov_b32_e32 v46, v44
	v_mov_b32_e32 v47, v39
	v_pk_add_f32 v[32:33], v[46:47], v[32:33]
	v_pk_mul_f32 v[46:47], v[28:29], s[30:31] op_sel:[1,0] op_sel_hi:[0,0]
	v_pk_fma_f32 v[50:51], v[24:25], s[2:3], v[46:47] op_sel_hi:[1,0,1]
	v_pk_fma_f32 v[46:47], v[24:25], s[2:3], v[46:47] op_sel_hi:[1,0,1] neg_lo:[0,0,1] neg_hi:[0,0,1]
	v_pk_mul_f32 v[66:67], v[42:43], s[24:25] op_sel:[1,0] op_sel_hi:[0,0]
	v_mov_b32_e32 v56, v50
	v_mov_b32_e32 v57, v47
	v_pk_fma_f32 v[70:71], v[40:41], s[22:23], v[66:67] op_sel_hi:[1,0,1]
	v_pk_fma_f32 v[66:67], v[40:41], s[22:23], v[66:67] op_sel_hi:[1,0,1] neg_lo:[0,0,1] neg_hi:[0,0,1]
	v_pk_add_f32 v[56:57], v[20:21], v[56:57]
	v_mov_b32_e32 v84, v70
	v_mov_b32_e32 v85, v67
	v_pk_add_f32 v[56:57], v[84:85], v[56:57]
	v_pk_mul_f32 v[84:85], v[52:53], s[36:37] op_sel:[1,0] op_sel_hi:[0,0]
	v_mov_b32_e32 v69, v63
	v_pk_fma_f32 v[86:87], v[48:49], s[26:27], v[84:85] op_sel_hi:[1,0,1]
	v_pk_fma_f32 v[84:85], v[48:49], s[26:27], v[84:85] op_sel_hi:[1,0,1] neg_lo:[0,0,1] neg_hi:[0,0,1]
	v_mov_b32_e32 v37, v73
	v_pk_add_f32 v[68:69], v[20:21], v[68:69]
	v_mov_b32_e32 v88, v86
	v_mov_b32_e32 v89, v85
	v_mul_u32_u24_e32 v27, 0x8f, v94
	v_pk_add_f32 v[36:37], v[36:37], v[68:69]
	v_mov_b32_e32 v55, v75
	v_mov_b32_e32 v47, v51
	v_pk_add_f32 v[56:57], v[88:89], v[56:57]
	v_pk_mul_f32 v[88:89], v[78:79], s[34:35] op_sel:[1,0] op_sel_hi:[0,0]
	v_add_lshl_u32 v136, v27, v95, 3
	v_pk_add_f32 v[36:37], v[54:55], v[36:37]
	v_mov_b32_e32 v27, v31
	v_pk_add_f32 v[46:47], v[20:21], v[46:47]
	v_mov_b32_e32 v67, v71
	v_pk_fma_f32 v[90:91], v[76:77], s[16:17], v[88:89] op_sel_hi:[1,0,1]
	v_pk_fma_f32 v[88:89], v[76:77], s[16:17], v[88:89] op_sel_hi:[1,0,1] neg_lo:[0,0,1] neg_hi:[0,0,1]
	v_pk_add_f32 v[26:27], v[26:27], v[36:37]
	v_mov_b32_e32 v39, v45
	v_pk_mul_f32 v[44:45], v[82:83], s[38:39] op_sel:[1,0] op_sel_hi:[0,0]
	v_pk_add_f32 v[46:47], v[66:67], v[46:47]
	v_mov_b32_e32 v85, v87
	v_mov_b32_e32 v93, v89
	v_pk_add_f32 v[26:27], v[38:39], v[26:27]
	v_pk_fma_f32 v[74:75], v[80:81], s[0:1], v[44:45] op_sel_hi:[1,0,1]
	v_pk_fma_f32 v[44:45], v[80:81], s[0:1], v[44:45] op_sel_hi:[1,0,1] neg_lo:[0,0,1] neg_hi:[0,0,1]
	v_mov_b32_e32 v89, v91
	v_pk_add_f32 v[46:47], v[84:85], v[46:47]
	v_mov_b32_e32 v92, v90
	ds_write2_b64 v136, v[22:23], v[26:27] offset1:13
	v_mov_b32_e32 v23, v45
	v_pk_add_f32 v[46:47], v[88:89], v[46:47]
	v_mov_b32_e32 v45, v75
	v_pk_add_f32 v[56:57], v[92:93], v[56:57]
	;; [unrolled: 2-line block ×3, first 2 shown]
	v_pk_mul_f32 v[46:47], v[28:29], s[18:19] op_sel:[1,0] op_sel_hi:[0,0]
	s_mov_b32 s30, 0x3f68dda4
	v_pk_add_f32 v[38:39], v[22:23], v[56:57]
	v_pk_fma_f32 v[56:57], v[24:25], s[16:17], v[46:47] op_sel_hi:[1,0,1] neg_lo:[0,0,1] neg_hi:[0,0,1]
	v_pk_fma_f32 v[46:47], v[24:25], s[16:17], v[46:47] op_sel_hi:[1,0,1]
	v_pk_mul_f32 v[70:71], v[42:43], s[36:37] op_sel:[1,0] op_sel_hi:[0,0]
	v_pk_mul_f32 v[54:55], v[52:53], s[30:31] op_sel:[1,0] op_sel_hi:[0,0]
	v_mov_b32_e32 v66, v56
	v_mov_b32_e32 v67, v47
	v_pk_fma_f32 v[74:75], v[40:41], s[26:27], v[70:71] op_sel_hi:[1,0,1] neg_lo:[0,0,1] neg_hi:[0,0,1]
	v_pk_fma_f32 v[70:71], v[40:41], s[26:27], v[70:71] op_sel_hi:[1,0,1]
	v_pk_mul_f32 v[62:63], v[78:79], s[20:21] op_sel:[1,0] op_sel_hi:[0,0]
	v_pk_fma_f32 v[30:31], v[48:49], s[2:3], v[54:55] op_sel_hi:[1,0,1]
	v_pk_fma_f32 v[54:55], v[48:49], s[2:3], v[54:55] op_sel_hi:[1,0,1] neg_lo:[0,0,1] neg_hi:[0,0,1]
	v_pk_add_f32 v[66:67], v[20:21], v[66:67]
	v_mov_b32_e32 v84, v74
	v_mov_b32_e32 v85, v71
	v_pk_fma_f32 v[68:69], v[76:77], s[0:1], v[62:63] op_sel_hi:[1,0,1]
	v_pk_fma_f32 v[62:63], v[76:77], s[0:1], v[62:63] op_sel_hi:[1,0,1] neg_lo:[0,0,1] neg_hi:[0,0,1]
	v_mov_b32_e32 v37, v55
	v_pk_mul_f32 v[22:23], v[82:83], s[24:25] op_sel:[1,0] op_sel_hi:[0,0]
	v_pk_add_f32 v[66:67], v[84:85], v[66:67]
	v_mov_b32_e32 v55, v31
	v_mov_b32_e32 v73, v63
	;; [unrolled: 1-line block ×3, first 2 shown]
	v_pk_fma_f32 v[26:27], v[80:81], s[22:23], v[22:23] op_sel_hi:[1,0,1]
	v_pk_fma_f32 v[22:23], v[80:81], s[22:23], v[22:23] op_sel_hi:[1,0,1] neg_lo:[0,0,1] neg_hi:[0,0,1]
	v_mov_b32_e32 v63, v69
	v_pk_add_f32 v[30:31], v[54:55], v[66:67]
	v_mov_b32_e32 v51, v23
	v_mov_b32_e32 v47, v57
	v_pk_add_f32 v[30:31], v[62:63], v[30:31]
	v_mov_b32_e32 v23, v27
	v_pk_add_f32 v[46:47], v[20:21], v[46:47]
	;; [unrolled: 2-line block ×3, first 2 shown]
	v_pk_add_f32 v[46:47], v[70:71], v[46:47]
	ds_write2_b64 v136, v[44:45], v[22:23] offset0:26 offset1:39
	v_pk_mul_f32 v[22:23], v[28:29], s[24:25] op_sel:[1,0] op_sel_hi:[0,0]
	v_mov_b32_e32 v72, v68
	v_mov_b32_e32 v50, v26
	v_pk_add_f32 v[36:37], v[36:37], v[46:47]
	v_pk_fma_f32 v[26:27], v[24:25], s[22:23], v[22:23] op_sel_hi:[1,0,1] neg_lo:[0,0,1] neg_hi:[0,0,1]
	v_pk_fma_f32 v[22:23], v[24:25], s[22:23], v[22:23] op_sel_hi:[1,0,1]
	v_pk_mul_f32 v[44:45], v[42:43], s[34:35] op_sel:[1,0] op_sel_hi:[0,0]
	v_pk_add_f32 v[36:37], v[72:73], v[36:37]
	v_mov_b32_e32 v30, v26
	v_mov_b32_e32 v31, v23
	v_pk_fma_f32 v[46:47], v[40:41], s[16:17], v[44:45] op_sel_hi:[1,0,1] neg_lo:[0,0,1] neg_hi:[0,0,1]
	v_pk_fma_f32 v[44:45], v[40:41], s[16:17], v[44:45] op_sel_hi:[1,0,1]
	v_pk_add_f32 v[36:37], v[50:51], v[36:37]
	v_pk_add_f32 v[30:31], v[20:21], v[30:31]
	v_mov_b32_e32 v50, v46
	v_mov_b32_e32 v51, v45
	v_pk_add_f32 v[30:31], v[50:51], v[30:31]
	v_pk_mul_f32 v[50:51], v[52:53], s[20:21] op_sel:[1,0] op_sel_hi:[0,0]
	v_pk_fma_f32 v[54:55], v[48:49], s[0:1], v[50:51] op_sel_hi:[1,0,1] neg_lo:[0,0,1] neg_hi:[0,0,1]
	v_pk_fma_f32 v[50:51], v[48:49], s[0:1], v[50:51] op_sel_hi:[1,0,1]
	v_mov_b32_e32 v56, v54
	v_mov_b32_e32 v57, v51
	v_pk_add_f32 v[30:31], v[56:57], v[30:31]
	v_pk_mul_f32 v[56:57], v[78:79], s[28:29] op_sel:[1,0] op_sel_hi:[0,0]
	v_pk_fma_f32 v[62:63], v[76:77], s[26:27], v[56:57] op_sel_hi:[1,0,1] neg_lo:[0,0,1] neg_hi:[0,0,1]
	v_pk_fma_f32 v[56:57], v[76:77], s[26:27], v[56:57] op_sel_hi:[1,0,1]
	;; [unrolled: 6-line block ×3, first 2 shown]
	v_mov_b32_e32 v70, v68
	v_mov_b32_e32 v71, v67
	v_pk_mul_f32 v[28:29], v[28:29], s[28:29] op_sel:[1,0] op_sel_hi:[0,0]
	v_pk_add_f32 v[30:31], v[70:71], v[30:31]
	v_pk_fma_f32 v[70:71], v[24:25], s[26:27], v[28:29] op_sel_hi:[1,0,1] neg_lo:[0,0,1] neg_hi:[0,0,1]
	v_pk_fma_f32 v[24:25], v[24:25], s[26:27], v[28:29] op_sel_hi:[1,0,1]
	v_pk_mul_f32 v[42:43], v[42:43], s[38:39] op_sel:[1,0] op_sel_hi:[0,0]
	v_mov_b32_e32 v28, v70
	v_mov_b32_e32 v29, v25
	v_pk_fma_f32 v[72:73], v[40:41], s[0:1], v[42:43] op_sel_hi:[1,0,1] neg_lo:[0,0,1] neg_hi:[0,0,1]
	v_pk_fma_f32 v[40:41], v[40:41], s[0:1], v[42:43] op_sel_hi:[1,0,1]
	v_pk_add_f32 v[28:29], v[20:21], v[28:29]
	v_mov_b32_e32 v42, v72
	v_mov_b32_e32 v43, v41
	v_pk_add_f32 v[28:29], v[42:43], v[28:29]
	v_pk_mul_f32 v[42:43], v[52:53], s[24:25] op_sel:[1,0] op_sel_hi:[0,0]
	v_pk_fma_f32 v[52:53], v[48:49], s[22:23], v[42:43] op_sel_hi:[1,0,1] neg_lo:[0,0,1] neg_hi:[0,0,1]
	v_pk_fma_f32 v[42:43], v[48:49], s[22:23], v[42:43] op_sel_hi:[1,0,1]
	v_mov_b32_e32 v48, v52
	v_mov_b32_e32 v49, v43
	v_pk_add_f32 v[28:29], v[48:49], v[28:29]
	v_pk_mul_f32 v[48:49], v[78:79], s[30:31] op_sel:[1,0] op_sel_hi:[0,0]
	v_pk_fma_f32 v[74:75], v[76:77], s[2:3], v[48:49] op_sel_hi:[1,0,1] neg_lo:[0,0,1] neg_hi:[0,0,1]
	v_pk_fma_f32 v[48:49], v[76:77], s[2:3], v[48:49] op_sel_hi:[1,0,1]
	v_mov_b32_e32 v25, v71
	v_mov_b32_e32 v23, v27
	;; [unrolled: 1-line block ×4, first 2 shown]
	v_pk_add_f32 v[24:25], v[20:21], v[24:25]
	v_mov_b32_e32 v41, v73
	v_pk_add_f32 v[20:21], v[20:21], v[22:23]
	v_mov_b32_e32 v45, v47
	v_pk_add_f32 v[28:29], v[76:77], v[28:29]
	v_pk_mul_f32 v[76:77], v[82:83], s[18:19] op_sel:[1,0] op_sel_hi:[0,0]
	v_pk_add_f32 v[24:25], v[40:41], v[24:25]
	v_mov_b32_e32 v43, v53
	v_pk_add_f32 v[20:21], v[44:45], v[20:21]
	v_mov_b32_e32 v51, v55
	v_pk_fma_f32 v[78:79], v[80:81], s[16:17], v[76:77] op_sel_hi:[1,0,1] neg_lo:[0,0,1] neg_hi:[0,0,1]
	v_pk_fma_f32 v[76:77], v[80:81], s[16:17], v[76:77] op_sel_hi:[1,0,1]
	v_pk_add_f32 v[24:25], v[42:43], v[24:25]
	v_mov_b32_e32 v49, v75
	v_pk_add_f32 v[20:21], v[50:51], v[20:21]
	v_mov_b32_e32 v57, v63
	v_mov_b32_e32 v80, v78
	;; [unrolled: 1-line block ×3, first 2 shown]
	v_pk_add_f32 v[24:25], v[48:49], v[24:25]
	v_mov_b32_e32 v77, v79
	v_pk_add_f32 v[20:21], v[56:57], v[20:21]
	v_mov_b32_e32 v67, v69
	v_pk_add_f32 v[28:29], v[80:81], v[28:29]
	v_pk_add_f32 v[24:25], v[76:77], v[24:25]
	;; [unrolled: 1-line block ×3, first 2 shown]
	ds_write2_b64 v136, v[30:31], v[28:29] offset0:52 offset1:65
	ds_write2_b64 v136, v[24:25], v[20:21] offset0:78 offset1:91
	;; [unrolled: 1-line block ×3, first 2 shown]
	ds_write_b64 v136, v[32:33] offset:1040
	s_waitcnt lgkmcnt(0)
	; wave barrier
	s_waitcnt lgkmcnt(0)
	ds_read2_b64 v[40:43], v58 offset1:52
	ds_read2_b64 v[52:55], v58 offset0:143 offset1:195
	ds_read2_b64 v[44:47], v59 offset0:30 offset1:82
	ds_read2_b64 v[48:51], v59 offset0:173 offset1:225
	v_cmp_gt_u16_e64 s[2:3], 39, v61
	s_and_saveexec_b64 s[0:1], s[2:3]
	s_cbranch_execz .LBB0_9
; %bb.8:
	v_add_u32_e32 v20, 0xc00, v58
	ds_read2_b64 v[36:39], v58 offset0:104 offset1:247
	ds_read2_b64 v[32:35], v20 offset0:6 offset1:149
.LBB0_9:
	s_or_b64 exec, exec, s[0:1]
	v_mad_u64_u32 v[20:21], s[0:1], v61, 24, s[6:7]
	global_load_dwordx4 v[24:27], v[20:21], off offset:1040
	global_load_dwordx2 v[66:67], v[20:21], off offset:1056
	global_load_dwordx4 v[28:31], v[20:21], off offset:2288
	global_load_dwordx2 v[68:69], v[20:21], off offset:2304
	v_add_u32_e32 v20, 0x68, v61
	v_subrev_u32_e32 v21, 39, v61
	v_cndmask_b32_e64 v20, v21, v20, s[2:3]
	v_mul_hi_i32_i24_e32 v21, 24, v20
	v_mul_i32_i24_e32 v20, 24, v20
	v_lshl_add_u64 v[56:57], s[6:7], 0, v[20:21]
	global_load_dwordx4 v[20:23], v[56:57], off offset:1040
	global_load_dwordx2 v[62:63], v[56:57], off offset:1056
	s_waitcnt vmcnt(5)
	v_mov_b32_e32 v56, v25
	s_waitcnt lgkmcnt(2)
	v_pk_mul_f32 v[70:71], v[52:53], v[24:25] op_sel:[1,0] op_sel_hi:[0,1]
	v_mov_b32_e32 v72, v27
	s_waitcnt lgkmcnt(1)
	v_pk_mul_f32 v[74:75], v[44:45], v[26:27] op_sel:[1,0] op_sel_hi:[0,1]
	s_waitcnt vmcnt(4)
	v_mov_b32_e32 v76, v67
	s_waitcnt lgkmcnt(0)
	v_pk_mul_f32 v[78:79], v[48:49], v[66:67] op_sel:[1,0] op_sel_hi:[0,1]
	s_waitcnt vmcnt(3)
	v_pk_mul_f32 v[80:81], v[54:55], v[28:29] op_sel:[0,1]
	v_mov_b32_e32 v82, v31
	v_pk_mul_f32 v[56:57], v[52:53], v[56:57] op_sel:[1,0] op_sel_hi:[0,1]
	v_mov_b32_e32 v71, v70
	v_pk_mul_f32 v[72:73], v[44:45], v[72:73] op_sel:[1,0] op_sel_hi:[0,1]
	;; [unrolled: 2-line block ×3, first 2 shown]
	v_mov_b32_e32 v79, v78
	v_pk_fma_f32 v[86:87], v[54:55], v[28:29], v[80:81] op_sel:[1,0,0] op_sel_hi:[0,1,1]
	v_pk_fma_f32 v[54:55], v[54:55], v[28:29], v[80:81] op_sel:[1,0,0] op_sel_hi:[0,0,1] neg_lo:[0,0,1] neg_hi:[0,0,1]
	v_pk_mul_f32 v[80:81], v[46:47], v[82:83] op_sel_hi:[1,0]
	s_waitcnt vmcnt(2)
	v_pk_mul_f32 v[84:85], v[50:51], v[68:69] op_sel:[0,1]
	v_pk_fma_f32 v[56:57], v[52:53], v[24:25], v[56:57] neg_lo:[0,0,1] neg_hi:[0,0,1]
	v_pk_fma_f32 v[52:53], v[52:53], v[24:25], v[70:71] op_sel:[1,0,0] op_sel_hi:[0,1,1]
	v_pk_fma_f32 v[70:71], v[44:45], v[26:27], v[72:73] neg_lo:[0,0,1] neg_hi:[0,0,1]
	v_pk_fma_f32 v[44:45], v[44:45], v[26:27], v[74:75] op_sel:[1,0,0] op_sel_hi:[0,1,1]
	v_pk_fma_f32 v[72:73], v[48:49], v[66:67], v[76:77] neg_lo:[0,0,1] neg_hi:[0,0,1]
	v_pk_fma_f32 v[48:49], v[48:49], v[66:67], v[78:79] op_sel:[1,0,0] op_sel_hi:[0,1,1]
	v_mov_b32_e32 v87, v55
	v_pk_fma_f32 v[54:55], v[46:47], v[30:31], v[80:81] op_sel:[0,0,1] op_sel_hi:[1,1,0] neg_lo:[0,0,1] neg_hi:[0,0,1]
	v_pk_fma_f32 v[46:47], v[46:47], v[30:31], v[80:81] op_sel:[0,0,1] op_sel_hi:[1,0,0]
	v_pk_fma_f32 v[82:83], v[50:51], v[68:69], v[84:85] op_sel:[1,0,0] op_sel_hi:[0,1,1]
	v_pk_fma_f32 v[50:51], v[50:51], v[68:69], v[84:85] op_sel:[1,0,0] op_sel_hi:[0,0,1] neg_lo:[0,0,1] neg_hi:[0,0,1]
	v_mov_b32_e32 v71, v45
	v_mov_b32_e32 v57, v53
	;; [unrolled: 1-line block ×4, first 2 shown]
	s_waitcnt vmcnt(1)
	v_pk_mul_f32 v[44:45], v[38:39], v[20:21] op_sel_hi:[0,1]
	v_pk_mul_f32 v[46:47], v[32:33], v[22:23] op_sel:[1,0]
	s_waitcnt vmcnt(0)
	v_pk_mul_f32 v[48:49], v[34:35], v[62:63] op_sel_hi:[0,1]
	v_mov_b32_e32 v83, v51
	v_pk_add_f32 v[52:53], v[40:41], v[70:71] neg_lo:[0,1] neg_hi:[0,1]
	v_pk_add_f32 v[70:71], v[56:57], v[72:73] neg_lo:[0,1] neg_hi:[0,1]
	v_pk_fma_f32 v[72:73], v[38:39], v[20:21], v[44:45] op_sel:[1,0,1] op_sel_hi:[1,1,0]
	v_pk_fma_f32 v[38:39], v[38:39], v[20:21], v[44:45] op_sel:[1,0,1] op_sel_hi:[1,1,0] neg_lo:[1,0,0] neg_hi:[1,0,0]
	v_pk_fma_f32 v[74:75], v[32:33], v[22:23], v[46:47] op_sel:[0,0,1] op_sel_hi:[1,1,0] neg_lo:[0,0,1] neg_hi:[0,0,1]
	v_pk_fma_f32 v[32:33], v[32:33], v[22:23], v[46:47] op_sel:[0,0,1] op_sel_hi:[0,1,0]
	v_pk_fma_f32 v[46:47], v[34:35], v[62:63], v[48:49] op_sel:[1,0,1] op_sel_hi:[1,1,0]
	v_pk_fma_f32 v[34:35], v[34:35], v[62:63], v[48:49] op_sel:[1,0,1] op_sel_hi:[1,1,0] neg_lo:[1,0,0] neg_hi:[1,0,0]
	v_pk_add_f32 v[50:51], v[86:87], v[82:83] neg_lo:[0,1] neg_hi:[0,1]
	v_pk_add_f32 v[48:49], v[42:43], v[54:55] neg_lo:[0,1] neg_hi:[0,1]
	v_pk_fma_f32 v[76:77], v[40:41], 2.0, v[52:53] op_sel_hi:[1,0,1] neg_lo:[0,0,1] neg_hi:[0,0,1]
	v_pk_fma_f32 v[56:57], v[56:57], 2.0, v[70:71] op_sel_hi:[1,0,1] neg_lo:[0,0,1] neg_hi:[0,0,1]
	v_pk_add_f32 v[40:41], v[52:53], v[70:71] op_sel:[0,1] op_sel_hi:[1,0] neg_lo:[0,1] neg_hi:[0,1]
	v_pk_add_f32 v[70:71], v[52:53], v[70:71] op_sel:[0,1] op_sel_hi:[1,0]
	v_mov_b32_e32 v73, v39
	v_mov_b32_e32 v75, v33
	;; [unrolled: 1-line block ×3, first 2 shown]
	v_pk_fma_f32 v[54:55], v[86:87], 2.0, v[50:51] op_sel_hi:[1,0,1] neg_lo:[0,0,1] neg_hi:[0,0,1]
	v_pk_fma_f32 v[78:79], v[42:43], 2.0, v[48:49] op_sel_hi:[1,0,1] neg_lo:[0,0,1] neg_hi:[0,0,1]
	v_pk_add_f32 v[44:45], v[48:49], v[50:51] neg_lo:[0,1] neg_hi:[0,1]
	v_pk_add_f32 v[32:33], v[48:49], v[50:51]
	v_pk_add_f32 v[38:39], v[76:77], v[56:57] neg_lo:[0,1] neg_hi:[0,1]
	v_mov_b32_e32 v41, v71
	v_pk_add_f32 v[56:57], v[36:37], v[74:75] neg_lo:[0,1] neg_hi:[0,1]
	v_pk_add_f32 v[50:51], v[72:73], v[46:47] neg_lo:[0,1] neg_hi:[0,1]
	v_pk_add_f32 v[42:43], v[78:79], v[54:55] op_sel:[0,1] op_sel_hi:[1,0] neg_lo:[0,1] neg_hi:[0,1]
	v_pk_fma_f32 v[34:35], v[52:53], 2.0, v[40:41] op_sel_hi:[1,0,1] neg_lo:[0,0,1] neg_hi:[0,0,1]
	v_pk_fma_f32 v[36:37], v[36:37], 2.0, v[56:57] op_sel_hi:[1,0,1] neg_lo:[0,0,1] neg_hi:[0,0,1]
	;; [unrolled: 1-line block ×3, first 2 shown]
	v_pk_add_f32 v[52:53], v[56:57], v[50:51] neg_lo:[0,1] neg_hi:[0,1]
	v_pk_add_f32 v[70:71], v[56:57], v[50:51]
	v_mov_b32_e32 v45, v33
	v_pk_add_f32 v[50:51], v[36:37], v[54:55] op_sel:[0,1] op_sel_hi:[1,0] neg_lo:[0,1] neg_hi:[0,1]
	v_mov_b32_e32 v53, v71
	v_pk_fma_f32 v[32:33], v[76:77], 2.0, v[38:39] op_sel_hi:[1,0,1] neg_lo:[0,0,1] neg_hi:[0,0,1]
	v_pk_fma_f32 v[46:47], v[78:79], 2.0, v[42:43] op_sel_hi:[1,0,1] neg_lo:[0,0,1] neg_hi:[0,0,1]
	;; [unrolled: 1-line block ×5, first 2 shown]
	ds_write2_b64 v58, v[32:33], v[46:47] offset1:52
	ds_write2_b64 v58, v[34:35], v[48:49] offset0:143 offset1:195
	ds_write2_b64 v59, v[38:39], v[42:43] offset0:30 offset1:82
	;; [unrolled: 1-line block ×3, first 2 shown]
	s_and_saveexec_b64 s[0:1], s[2:3]
	s_cbranch_execz .LBB0_11
; %bb.10:
	v_add_u32_e32 v36, 0xc00, v58
	ds_write2_b64 v58, v[54:55], v[56:57] offset0:104 offset1:247
	ds_write2_b64 v36, v[50:51], v[52:53] offset0:6 offset1:149
.LBB0_11:
	s_or_b64 exec, exec, s[0:1]
	s_waitcnt lgkmcnt(0)
	; wave barrier
	s_waitcnt lgkmcnt(0)
	s_and_saveexec_b64 s[0:1], s[4:5]
	s_cbranch_execz .LBB0_13
; %bb.12:
	v_mov_b32_e32 v59, 0
	v_lshl_add_u64 v[36:37], s[12:13], 0, v[58:59]
	v_add_co_u32_e32 v72, vcc, 0x1000, v36
	ds_read_b64 v[70:71], v58
	s_nop 0
	v_addc_co_u32_e32 v73, vcc, 0, v37, vcc
	global_load_dwordx2 v[72:73], v[72:73], off offset:480
	s_mov_b64 s[6:7], 0x11e0
	v_lshl_add_u64 v[74:75], v[36:37], 0, s[6:7]
	v_add_co_u32_e32 v36, vcc, 0x2000, v36
	s_nop 1
	v_addc_co_u32_e32 v37, vcc, 0, v37, vcc
	global_load_dwordx2 v[36:37], v[36:37], off offset:608
	s_waitcnt vmcnt(1) lgkmcnt(0)
	v_mul_f32_e32 v59, v71, v73
	v_mul_f32_e32 v77, v70, v73
	v_fma_f32 v76, v70, v72, -v59
	v_fmac_f32_e32 v77, v71, v72
	ds_write_b64 v58, v[76:77]
	global_load_dwordx2 v[76:77], v[74:75], off offset:352
	ds_read2_b64 v[70:73], v58 offset0:44 offset1:88
	s_waitcnt vmcnt(0) lgkmcnt(0)
	v_mul_f32_e32 v59, v71, v77
	v_mul_f32_e32 v79, v70, v77
	v_fma_f32 v78, v70, v76, -v59
	v_fmac_f32_e32 v79, v71, v76
	global_load_dwordx2 v[70:71], v[74:75], off offset:704
	s_waitcnt vmcnt(0)
	v_mul_f32_e32 v59, v73, v71
	v_mul_f32_e32 v77, v72, v71
	v_fma_f32 v76, v72, v70, -v59
	v_fmac_f32_e32 v77, v73, v70
	ds_write2_b64 v58, v[78:79], v[76:77] offset0:44 offset1:88
	global_load_dwordx2 v[76:77], v[74:75], off offset:1056
	ds_read2_b64 v[70:73], v58 offset0:132 offset1:176
	s_waitcnt vmcnt(0) lgkmcnt(0)
	v_mul_f32_e32 v59, v71, v77
	v_mul_f32_e32 v79, v70, v77
	v_fma_f32 v78, v70, v76, -v59
	v_fmac_f32_e32 v79, v71, v76
	global_load_dwordx2 v[70:71], v[74:75], off offset:1408
	s_waitcnt vmcnt(0)
	v_mul_f32_e32 v59, v73, v71
	v_mul_f32_e32 v77, v72, v71
	v_fma_f32 v76, v72, v70, -v59
	v_fmac_f32_e32 v77, v73, v70
	ds_write2_b64 v58, v[78:79], v[76:77] offset0:132 offset1:176
	global_load_dwordx2 v[76:77], v[74:75], off offset:1760
	v_add_u32_e32 v59, 0x400, v58
	ds_read2_b64 v[70:73], v59 offset0:92 offset1:136
	s_waitcnt vmcnt(0) lgkmcnt(0)
	v_mul_f32_e32 v78, v71, v77
	v_mul_f32_e32 v79, v70, v77
	v_fma_f32 v78, v70, v76, -v78
	v_fmac_f32_e32 v79, v71, v76
	global_load_dwordx2 v[70:71], v[74:75], off offset:2112
	s_waitcnt vmcnt(0)
	v_mul_f32_e32 v76, v73, v71
	v_mul_f32_e32 v77, v72, v71
	v_fma_f32 v76, v72, v70, -v76
	v_fmac_f32_e32 v77, v73, v70
	ds_write2_b64 v59, v[78:79], v[76:77] offset0:92 offset1:136
	global_load_dwordx2 v[76:77], v[74:75], off offset:2464
	v_add_u32_e32 v59, 0x800, v58
	ds_read2_b64 v[70:73], v59 offset0:52 offset1:96
	s_waitcnt vmcnt(0) lgkmcnt(0)
	v_mul_f32_e32 v78, v71, v77
	v_mul_f32_e32 v79, v70, v77
	v_fma_f32 v78, v70, v76, -v78
	v_fmac_f32_e32 v79, v71, v76
	global_load_dwordx2 v[70:71], v[74:75], off offset:2816
	s_waitcnt vmcnt(0)
	v_mul_f32_e32 v76, v73, v71
	v_mul_f32_e32 v77, v72, v71
	v_fma_f32 v76, v72, v70, -v76
	v_fmac_f32_e32 v77, v73, v70
	ds_write2_b64 v59, v[78:79], v[76:77] offset0:52 offset1:96
	global_load_dwordx2 v[76:77], v[74:75], off offset:3168
	ds_read2_b64 v[70:73], v59 offset0:140 offset1:184
	s_waitcnt vmcnt(0) lgkmcnt(0)
	v_mul_f32_e32 v78, v71, v77
	v_mul_f32_e32 v79, v70, v77
	v_fma_f32 v78, v70, v76, -v78
	v_fmac_f32_e32 v79, v71, v76
	global_load_dwordx2 v[70:71], v[74:75], off offset:3520
	s_waitcnt vmcnt(0)
	v_mul_f32_e32 v76, v73, v71
	global_load_dwordx2 v[74:75], v[74:75], off offset:3872
	v_mul_f32_e32 v77, v72, v71
	v_fma_f32 v76, v72, v70, -v76
	v_fmac_f32_e32 v77, v73, v70
	ds_write2_b64 v59, v[78:79], v[76:77] offset0:140 offset1:184
	v_add_u32_e32 v59, 0xc00, v58
	ds_read2_b64 v[70:73], v59 offset0:100 offset1:144
	s_waitcnt vmcnt(0) lgkmcnt(0)
	v_mul_f32_e32 v76, v71, v75
	v_mul_f32_e32 v77, v70, v75
	v_fma_f32 v76, v70, v74, -v76
	v_fmac_f32_e32 v77, v71, v74
	v_mul_f32_e32 v70, v73, v37
	v_mul_f32_e32 v71, v72, v37
	v_fma_f32 v70, v72, v36, -v70
	v_fmac_f32_e32 v71, v73, v36
	ds_write2_b64 v59, v[76:77], v[70:71] offset0:100 offset1:144
.LBB0_13:
	s_or_b64 exec, exec, s[0:1]
	s_waitcnt lgkmcnt(0)
	; wave barrier
	s_waitcnt lgkmcnt(0)
	s_and_saveexec_b64 s[0:1], s[4:5]
	s_cbranch_execz .LBB0_15
; %bb.14:
	v_add_u32_e32 v36, 0x800, v58
	ds_read2_b64 v[32:35], v58 offset1:44
	ds_read2_b64 v[38:41], v58 offset0:88 offset1:132
	ds_read2_b64 v[46:49], v58 offset0:176 offset1:220
	;; [unrolled: 1-line block ×5, first 2 shown]
	ds_read_b64 v[64:65], v58 offset:4224
.LBB0_15:
	s_or_b64 exec, exec, s[0:1]
	s_waitcnt lgkmcnt(0)
	v_pk_add_f32 v[36:37], v[34:35], v[64:65] neg_lo:[0,1] neg_hi:[0,1]
	v_pk_add_f32 v[110:111], v[34:35], v[64:65]
	v_mov_b32_e32 v71, v36
	v_mov_b32_e32 v70, v110
	v_mov_b32_e32 v110, v37
	v_pk_add_f32 v[36:37], v[38:39], v[52:53] neg_lo:[0,1] neg_hi:[0,1]
	v_pk_add_f32 v[108:109], v[38:39], v[52:53]
	v_mov_b32_e32 v73, v36
	v_mov_b32_e32 v72, v108
	v_mov_b32_e32 v108, v37
	;; [unrolled: 5-line block ×3, first 2 shown]
	v_pk_add_f32 v[36:37], v[46:47], v[56:57] neg_lo:[0,1] neg_hi:[0,1]
	v_pk_add_f32 v[104:105], v[46:47], v[56:57]
	s_mov_b32 s40, 0xbf52af12
	v_mov_b32_e32 v76, v104
	v_mov_b32_e32 v77, v36
	;; [unrolled: 1-line block ×3, first 2 shown]
	v_pk_add_f32 v[36:37], v[48:49], v[54:55] neg_lo:[0,1] neg_hi:[0,1]
	v_pk_add_f32 v[102:103], v[48:49], v[54:55]
	s_mov_b32 s41, 0x3f116cb1
	s_mov_b32 s30, 0xbf6f5d39
	v_mov_b32_e32 v80, v102
	v_mov_b32_e32 v81, v36
	;; [unrolled: 1-line block ×3, first 2 shown]
	v_pk_add_f32 v[36:37], v[42:43], v[44:45] neg_lo:[0,1] neg_hi:[0,1]
	v_pk_add_f32 v[100:101], v[42:43], v[44:45]
	v_pk_mul_f32 v[112:113], v[110:111], s[40:41]
	s_mov_b32 s0, s41
	s_mov_b32 s1, s40
	;; [unrolled: 1-line block ×3, first 2 shown]
	v_mov_b32_e32 v84, v100
	v_mov_b32_e32 v85, v36
	;; [unrolled: 1-line block ×3, first 2 shown]
	v_pk_fma_f32 v[36:37], v[70:71], s[0:1], v[112:113] neg_lo:[0,0,1] neg_hi:[0,0,1]
	v_pk_fma_f32 v[114:115], v[70:71], s[0:1], v[112:113]
	v_pk_mul_f32 v[116:117], v[108:109], s[30:31]
	s_mov_b32 s6, s31
	s_mov_b32 s7, s30
	;; [unrolled: 1-line block ×3, first 2 shown]
	v_mov_b32_e32 v37, v115
	v_pk_fma_f32 v[78:79], v[72:73], s[6:7], v[116:117] neg_lo:[0,0,1] neg_hi:[0,0,1]
	v_pk_fma_f32 v[118:119], v[72:73], s[6:7], v[116:117]
	s_mov_b32 s39, 0xbf788fa5
	v_pk_add_f32 v[36:37], v[32:33], v[36:37]
	v_mov_b32_e32 v79, v119
	v_pk_mul_f32 v[120:121], v[106:107], s[38:39]
	s_mov_b32 s16, s39
	s_mov_b32 s17, s38
	s_mov_b32 s46, 0x3f29c268
	v_pk_add_f32 v[36:37], v[78:79], v[36:37]
	v_pk_fma_f32 v[78:79], v[74:75], s[16:17], v[120:121] neg_lo:[0,0,1] neg_hi:[0,0,1]
	v_pk_fma_f32 v[122:123], v[74:75], s[16:17], v[120:121]
	s_mov_b32 s47, 0xbf3f9e67
	v_mov_b32_e32 v79, v123
	v_pk_mul_f32 v[124:125], v[104:105], s[46:47]
	s_mov_b32 s20, s47
	s_mov_b32 s21, s46
	;; [unrolled: 1-line block ×3, first 2 shown]
	v_pk_add_f32 v[36:37], v[78:79], v[36:37]
	v_pk_fma_f32 v[78:79], v[76:77], s[20:21], v[124:125] neg_lo:[0,0,1] neg_hi:[0,0,1]
	v_pk_fma_f32 v[126:127], v[76:77], s[20:21], v[124:125]
	s_mov_b32 s37, 0x3df6dbef
	s_mov_b32 s42, 0x3eedf032
	v_mov_b32_e32 v79, v127
	v_pk_mul_f32 v[128:129], v[102:103], s[36:37]
	s_mov_b32 s26, s37
	s_mov_b32 s27, s36
	;; [unrolled: 1-line block ×3, first 2 shown]
	v_pk_add_f32 v[36:37], v[78:79], v[36:37]
	v_pk_fma_f32 v[78:79], v[80:81], s[26:27], v[128:129] neg_lo:[0,0,1] neg_hi:[0,0,1]
	v_pk_fma_f32 v[130:131], v[80:81], s[26:27], v[128:129]
	s_mov_b32 s22, s43
	s_mov_b32 s23, s42
	v_pk_mul_f32 v[134:135], v[100:101], s[42:43]
	v_mov_b32_e32 v79, v131
	v_pk_fma_f32 v[138:139], v[84:85], s[22:23], v[134:135] neg_lo:[0,0,1] neg_hi:[0,0,1]
	v_pk_fma_f32 v[132:133], v[84:85], s[22:23], v[134:135]
	v_pk_add_f32 v[36:37], v[78:79], v[36:37]
	v_mov_b32_e32 v139, v133
	v_mov_b32_e32 v92, v18
	v_mov_b32_e32 v93, v18
	v_mov_b32_e32 v18, v19
	v_mov_b32_e32 v88, v12
	v_mov_b32_e32 v89, v12
	v_mov_b32_e32 v12, v13
	v_mov_b32_e32 v86, v6
	v_mov_b32_e32 v87, v6
	v_mov_b32_e32 v6, v7
	v_mov_b32_e32 v82, v0
	v_mov_b32_e32 v83, v0
	v_mov_b32_e32 v0, v1
	v_mov_b32_e32 v78, v2
	v_mov_b32_e32 v79, v2
	v_mov_b32_e32 v2, v3
	v_mov_b32_e32 v98, v14
	v_mov_b32_e32 v99, v14
	v_mov_b32_e32 v14, v15
	v_mov_b32_e32 v96, v8
	v_mov_b32_e32 v97, v8
	v_mov_b32_e32 v8, v9
	v_mov_b32_e32 v94, v10
	v_mov_b32_e32 v95, v10
	v_mov_b32_e32 v10, v11
	v_mov_b32_e32 v90, v4
	v_mov_b32_e32 v91, v4
	v_mov_b32_e32 v4, v5
	v_pk_add_f32 v[36:37], v[138:139], v[36:37]
	s_waitcnt lgkmcnt(0)
	; wave barrier
	s_and_saveexec_b64 s[18:19], s[4:5]
	s_cbranch_execz .LBB0_17
; %bb.16:
	v_pk_add_f32 v[34:35], v[34:35], v[32:33]
	v_pk_mul_f32 v[138:139], v[70:71], s[0:1]
	v_pk_add_f32 v[34:35], v[38:39], v[34:35]
	s_mov_b32 s25, 0xbeedf032
	v_pk_add_f32 v[34:35], v[40:41], v[34:35]
	v_pk_add_f32 v[112:113], v[112:113], v[138:139] neg_lo:[0,1] neg_hi:[0,1]
	v_pk_add_f32 v[34:35], v[46:47], v[34:35]
	v_pk_mul_f32 v[140:141], v[72:73], s[6:7]
	v_pk_add_f32 v[34:35], v[48:49], v[34:35]
	s_mov_b32 s28, s25
	v_pk_add_f32 v[34:35], v[42:43], v[34:35]
	s_mov_b32 s29, s43
	v_pk_add_f32 v[34:35], v[44:45], v[34:35]
	v_mov_b32_e32 v115, v113
	v_pk_add_f32 v[34:35], v[54:55], v[34:35]
	v_pk_mul_f32 v[142:143], v[74:75], s[16:17]
	v_pk_add_f32 v[34:35], v[56:57], v[34:35]
	s_mov_b32 s24, s43
	v_pk_add_f32 v[34:35], v[50:51], v[34:35]
	v_pk_mul_f32 v[38:39], v[110:111], s[28:29]
	v_pk_add_f32 v[34:35], v[52:53], v[34:35]
	v_pk_add_f32 v[112:113], v[32:33], v[114:115]
	v_pk_add_f32 v[114:115], v[116:117], v[140:141] neg_lo:[0,1] neg_hi:[0,1]
	v_pk_mul_f32 v[144:145], v[76:77], s[20:21]
	v_pk_add_f32 v[150:151], v[64:65], v[34:35]
	v_pk_fma_f32 v[34:35], v[70:71], s[24:25], v[38:39]
	v_pk_fma_f32 v[40:41], v[70:71], s[24:25], v[38:39] neg_lo:[1,0,0] neg_hi:[1,0,0]
	v_mov_b32_e32 v119, v115
	v_pk_add_f32 v[114:115], v[120:121], v[142:143] neg_lo:[0,1] neg_hi:[0,1]
	v_pk_mul_f32 v[146:147], v[80:81], s[26:27]
	v_mov_b32_e32 v40, v34
	v_pk_mul_f32 v[42:43], v[108:109], s[40:41]
	s_mov_b32 s29, 0xbf7e222b
	v_pk_add_f32 v[112:113], v[118:119], v[112:113]
	v_mov_b32_e32 v123, v115
	v_pk_add_f32 v[114:115], v[124:125], v[144:145] neg_lo:[0,1] neg_hi:[0,1]
	v_pk_mul_f32 v[148:149], v[84:85], s[22:23]
	v_pk_add_f32 v[44:45], v[32:33], v[40:41]
	v_pk_fma_f32 v[40:41], v[72:73], s[0:1], v[42:43]
	v_pk_fma_f32 v[46:47], v[72:73], s[0:1], v[42:43] neg_lo:[1,0,0] neg_hi:[1,0,0]
	s_mov_b32 s50, s29
	s_mov_b32 s51, s37
	v_pk_add_f32 v[112:113], v[122:123], v[112:113]
	v_mov_b32_e32 v127, v115
	v_pk_add_f32 v[114:115], v[128:129], v[146:147] neg_lo:[0,1] neg_hi:[0,1]
	v_mov_b32_e32 v46, v40
	s_mov_b32 s28, s37
	v_pk_add_f32 v[112:113], v[126:127], v[112:113]
	v_mov_b32_e32 v131, v115
	v_pk_add_f32 v[114:115], v[134:135], v[148:149] neg_lo:[0,1] neg_hi:[0,1]
	v_pk_mul_f32 v[122:123], v[110:111], s[50:51]
	v_pk_add_f32 v[48:49], v[46:47], v[44:45]
	v_pk_mul_f32 v[46:47], v[106:107], s[50:51]
	v_pk_add_f32 v[112:113], v[130:131], v[112:113]
	v_mov_b32_e32 v133, v115
	v_pk_mul_f32 v[118:119], v[108:109], s[38:39]
	s_mov_b32 s45, 0x3f6f5d39
	v_pk_fma_f32 v[126:127], v[70:71], s[28:29], v[122:123]
	v_pk_fma_f32 v[128:129], v[70:71], s[28:29], v[122:123] neg_lo:[1,0,0] neg_hi:[1,0,0]
	v_pk_fma_f32 v[44:45], v[74:75], s[28:29], v[46:47]
	v_pk_fma_f32 v[50:51], v[74:75], s[28:29], v[46:47] neg_lo:[1,0,0] neg_hi:[1,0,0]
	v_pk_add_f32 v[124:125], v[132:133], v[112:113]
	s_mov_b32 s52, s45
	s_mov_b32 s53, s31
	v_mov_b32_e32 v128, v126
	v_pk_fma_f32 v[130:131], v[72:73], s[16:17], v[118:119]
	v_pk_fma_f32 v[132:133], v[72:73], s[16:17], v[118:119] neg_lo:[1,0,0] neg_hi:[1,0,0]
	v_mov_b32_e32 v50, v44
	s_mov_b32 s44, s31
	v_pk_mul_f32 v[120:121], v[106:107], s[52:53]
	v_pk_add_f32 v[128:129], v[32:33], v[128:129]
	v_mov_b32_e32 v132, v130
	v_pk_add_f32 v[52:53], v[50:51], v[48:49]
	v_pk_mul_f32 v[50:51], v[104:105], s[30:31]
	v_pk_add_f32 v[128:129], v[132:133], v[128:129]
	v_pk_fma_f32 v[132:133], v[74:75], s[44:45], v[120:121]
	v_pk_fma_f32 v[134:135], v[74:75], s[44:45], v[120:121] neg_lo:[1,0,0] neg_hi:[1,0,0]
	v_pk_fma_f32 v[48:49], v[76:77], s[6:7], v[50:51]
	v_pk_fma_f32 v[54:55], v[76:77], s[6:7], v[50:51] neg_lo:[1,0,0] neg_hi:[1,0,0]
	s_mov_b32 s35, 0xbf29c268
	v_pk_mul_f32 v[116:117], v[104:105], s[42:43]
	v_mov_b32_e32 v134, v132
	v_mov_b32_e32 v54, v48
	s_mov_b32 s48, s35
	s_mov_b32 s49, s47
	v_pk_add_f32 v[128:129], v[134:135], v[128:129]
	v_pk_fma_f32 v[134:135], v[76:77], s[22:23], v[116:117]
	v_pk_fma_f32 v[138:139], v[76:77], s[22:23], v[116:117] neg_lo:[1,0,0] neg_hi:[1,0,0]
	v_pk_add_f32 v[56:57], v[54:55], v[52:53]
	s_mov_b32 s34, s47
	v_pk_mul_f32 v[54:55], v[102:103], s[48:49]
	v_pk_mul_f32 v[114:115], v[102:103], s[40:41]
	v_mov_b32_e32 v138, v134
	v_pk_fma_f32 v[52:53], v[80:81], s[34:35], v[54:55]
	v_pk_fma_f32 v[64:65], v[80:81], s[34:35], v[54:55] neg_lo:[1,0,0] neg_hi:[1,0,0]
	v_pk_add_f32 v[128:129], v[138:139], v[128:129]
	v_pk_fma_f32 v[138:139], v[80:81], s[0:1], v[114:115]
	v_pk_fma_f32 v[140:141], v[80:81], s[0:1], v[114:115] neg_lo:[1,0,0] neg_hi:[1,0,0]
	v_mov_b32_e32 v64, v52
	v_pk_mul_f32 v[112:113], v[100:101], s[48:49]
	v_mov_b32_e32 v140, v138
	v_pk_add_f32 v[152:153], v[64:65], v[56:57]
	v_pk_mul_f32 v[64:65], v[100:101], s[38:39]
	v_pk_add_f32 v[128:129], v[140:141], v[128:129]
	v_pk_fma_f32 v[140:141], v[84:85], s[34:35], v[112:113]
	v_pk_fma_f32 v[142:143], v[84:85], s[34:35], v[112:113] neg_lo:[1,0,0] neg_hi:[1,0,0]
	v_pk_fma_f32 v[56:57], v[84:85], s[16:17], v[64:65]
	v_pk_fma_f32 v[154:155], v[84:85], s[16:17], v[64:65] neg_lo:[1,0,0] neg_hi:[1,0,0]
	v_mov_b32_e32 v142, v140
	v_lshlrev_b32_e32 v59, 3, v137
	v_mov_b32_e32 v154, v56
	v_pk_add_f32 v[128:129], v[142:143], v[128:129]
	v_pk_add_f32 v[152:153], v[154:155], v[152:153]
	ds_write2_b64 v59, v[124:125], v[128:129] offset0:2 offset1:3
	v_pk_mul_f32 v[124:125], v[110:111], s[30:31]
	ds_write2_b64 v59, v[150:151], v[152:153] offset1:1
	v_pk_mul_f32 v[128:129], v[108:109], s[46:47]
	v_pk_fma_f32 v[150:151], v[70:71], s[6:7], v[124:125]
	v_pk_fma_f32 v[152:153], v[70:71], s[6:7], v[124:125] neg_lo:[1,0,0] neg_hi:[1,0,0]
	v_pk_fma_f32 v[154:155], v[72:73], s[20:21], v[128:129]
	v_mov_b32_e32 v152, v150
	v_pk_fma_f32 v[156:157], v[72:73], s[20:21], v[128:129] neg_lo:[1,0,0] neg_hi:[1,0,0]
	v_pk_mul_f32 v[142:143], v[106:107], s[42:43]
	v_pk_add_f32 v[152:153], v[32:33], v[152:153]
	v_mov_b32_e32 v156, v154
	v_pk_add_f32 v[152:153], v[156:157], v[152:153]
	v_pk_fma_f32 v[156:157], v[74:75], s[22:23], v[142:143]
	v_pk_fma_f32 v[158:159], v[74:75], s[22:23], v[142:143] neg_lo:[1,0,0] neg_hi:[1,0,0]
	v_pk_mul_f32 v[144:145], v[104:105], s[50:51]
	s_mov_b32 s47, 0x3e750f2a
	v_mov_b32_e32 v158, v156
	s_mov_b32 s52, s47
	s_mov_b32 s53, s39
	v_pk_add_f32 v[152:153], v[158:159], v[152:153]
	v_pk_fma_f32 v[158:159], v[76:77], s[28:29], v[144:145]
	v_pk_fma_f32 v[160:161], v[76:77], s[28:29], v[144:145] neg_lo:[1,0,0] neg_hi:[1,0,0]
	s_mov_b32 s46, s39
	v_pk_mul_f32 v[146:147], v[102:103], s[52:53]
	s_mov_b32 s51, 0x3f52af12
	v_mov_b32_e32 v160, v158
	s_mov_b32 s54, s51
	s_mov_b32 s55, s41
	v_pk_add_f32 v[152:153], v[160:161], v[152:153]
	v_pk_fma_f32 v[160:161], v[80:81], s[46:47], v[146:147]
	v_pk_fma_f32 v[162:163], v[80:81], s[46:47], v[146:147] neg_lo:[1,0,0] neg_hi:[1,0,0]
	s_mov_b32 s50, s41
	v_pk_mul_f32 v[148:149], v[100:101], s[54:55]
	v_mov_b32_e32 v162, v160
	v_pk_add_f32 v[152:153], v[162:163], v[152:153]
	v_pk_fma_f32 v[162:163], v[84:85], s[50:51], v[148:149]
	v_pk_fma_f32 v[164:165], v[84:85], s[50:51], v[148:149] neg_lo:[1,0,0] neg_hi:[1,0,0]
	v_pk_mul_f32 v[166:167], v[108:109], s[36:37]
	v_mov_b32_e32 v164, v162
	v_pk_add_f32 v[152:153], v[164:165], v[152:153]
	v_pk_mul_f32 v[164:165], v[110:111], s[48:49]
	v_pk_fma_f32 v[180:181], v[72:73], s[26:27], v[166:167]
	v_pk_fma_f32 v[176:177], v[70:71], s[34:35], v[164:165]
	v_pk_fma_f32 v[178:179], v[70:71], s[34:35], v[164:165] neg_lo:[1,0,0] neg_hi:[1,0,0]
	v_pk_fma_f32 v[182:183], v[72:73], s[26:27], v[166:167] neg_lo:[1,0,0] neg_hi:[1,0,0]
	v_mov_b32_e32 v178, v176
	v_pk_mul_f32 v[168:169], v[106:107], s[40:41]
	v_pk_add_f32 v[178:179], v[32:33], v[178:179]
	v_mov_b32_e32 v182, v180
	v_pk_add_f32 v[178:179], v[182:183], v[178:179]
	v_pk_fma_f32 v[182:183], v[74:75], s[0:1], v[168:169]
	v_pk_fma_f32 v[184:185], v[74:75], s[0:1], v[168:169] neg_lo:[1,0,0] neg_hi:[1,0,0]
	v_pk_mul_f32 v[170:171], v[104:105], s[52:53]
	v_mov_b32_e32 v184, v182
	v_pk_add_f32 v[178:179], v[184:185], v[178:179]
	v_pk_fma_f32 v[184:185], v[76:77], s[46:47], v[170:171]
	v_pk_fma_f32 v[186:187], v[76:77], s[46:47], v[170:171] neg_lo:[1,0,0] neg_hi:[1,0,0]
	v_pk_mul_f32 v[172:173], v[102:103], s[42:43]
	;; [unrolled: 5-line block ×4, first 2 shown]
	v_mov_b32_e32 v190, v188
	v_pk_add_f32 v[178:179], v[190:191], v[178:179]
	ds_write2_b64 v59, v[152:153], v[178:179] offset0:4 offset1:5
	v_pk_fma_f32 v[152:153], v[70:71], s[16:17], v[110:111]
	v_pk_fma_f32 v[178:179], v[70:71], s[16:17], v[110:111] neg_lo:[1,0,0] neg_hi:[1,0,0]
	v_pk_mul_f32 v[108:109], v[108:109], s[42:43]
	v_mov_b32_e32 v178, v152
	v_pk_fma_f32 v[190:191], v[72:73], s[22:23], v[108:109]
	v_pk_fma_f32 v[192:193], v[72:73], s[22:23], v[108:109] neg_lo:[1,0,0] neg_hi:[1,0,0]
	v_pk_add_f32 v[178:179], v[32:33], v[178:179]
	v_mov_b32_e32 v192, v190
	v_pk_mul_f32 v[106:107], v[106:107], s[48:49]
	v_pk_add_f32 v[178:179], v[192:193], v[178:179]
	v_pk_fma_f32 v[192:193], v[74:75], s[34:35], v[106:107]
	v_pk_fma_f32 v[194:195], v[74:75], s[34:35], v[106:107] neg_lo:[1,0,0] neg_hi:[1,0,0]
	v_pk_mul_f32 v[104:105], v[104:105], s[54:55]
	v_mov_b32_e32 v194, v192
	v_pk_fma_f32 v[110:111], v[70:71], s[16:17], v[110:111] neg_lo:[0,0,1] neg_hi:[0,0,1]
	v_pk_add_f32 v[178:179], v[194:195], v[178:179]
	v_pk_fma_f32 v[194:195], v[76:77], s[50:51], v[104:105]
	v_pk_fma_f32 v[196:197], v[76:77], s[50:51], v[104:105] neg_lo:[1,0,0] neg_hi:[1,0,0]
	v_mov_b32_e32 v111, v153
	v_pk_fma_f32 v[108:109], v[72:73], s[22:23], v[108:109] neg_lo:[0,0,1] neg_hi:[0,0,1]
	v_mov_b32_e32 v196, v194
	v_pk_mul_f32 v[102:103], v[102:103], s[30:31]
	v_pk_add_f32 v[110:111], v[32:33], v[110:111]
	v_mov_b32_e32 v109, v191
	v_pk_fma_f32 v[106:107], v[74:75], s[34:35], v[106:107] neg_lo:[0,0,1] neg_hi:[0,0,1]
	v_pk_add_f32 v[178:179], v[196:197], v[178:179]
	v_pk_fma_f32 v[196:197], v[80:81], s[6:7], v[102:103]
	v_pk_fma_f32 v[198:199], v[80:81], s[6:7], v[102:103] neg_lo:[1,0,0] neg_hi:[1,0,0]
	v_pk_add_f32 v[108:109], v[108:109], v[110:111]
	v_mov_b32_e32 v107, v193
	v_pk_fma_f32 v[104:105], v[76:77], s[50:51], v[104:105] neg_lo:[0,0,1] neg_hi:[0,0,1]
	v_mov_b32_e32 v198, v196
	v_pk_mul_f32 v[100:101], v[100:101], s[36:37]
	v_pk_add_f32 v[106:107], v[106:107], v[108:109]
	v_mov_b32_e32 v105, v195
	v_pk_fma_f32 v[102:103], v[80:81], s[6:7], v[102:103] neg_lo:[0,0,1] neg_hi:[0,0,1]
	v_pk_add_f32 v[178:179], v[198:199], v[178:179]
	v_pk_fma_f32 v[198:199], v[84:85], s[26:27], v[100:101]
	v_pk_fma_f32 v[200:201], v[84:85], s[26:27], v[100:101] neg_lo:[1,0,0] neg_hi:[1,0,0]
	v_pk_add_f32 v[104:105], v[104:105], v[106:107]
	v_mov_b32_e32 v103, v197
	v_pk_fma_f32 v[100:101], v[84:85], s[26:27], v[100:101] neg_lo:[0,0,1] neg_hi:[0,0,1]
	v_mov_b32_e32 v200, v198
	v_pk_add_f32 v[102:103], v[102:103], v[104:105]
	v_mov_b32_e32 v101, v199
	v_pk_add_f32 v[178:179], v[200:201], v[178:179]
	v_pk_add_f32 v[100:101], v[100:101], v[102:103]
	ds_write2_b64 v59, v[178:179], v[100:101] offset0:6 offset1:7
	v_pk_fma_f32 v[100:101], v[70:71], s[34:35], v[164:165] neg_lo:[0,0,1] neg_hi:[0,0,1]
	v_pk_fma_f32 v[102:103], v[72:73], s[26:27], v[166:167] neg_lo:[0,0,1] neg_hi:[0,0,1]
	v_mov_b32_e32 v101, v177
	v_pk_add_f32 v[100:101], v[32:33], v[100:101]
	v_mov_b32_e32 v103, v181
	v_pk_add_f32 v[100:101], v[102:103], v[100:101]
	v_pk_fma_f32 v[102:103], v[74:75], s[0:1], v[168:169] neg_lo:[0,0,1] neg_hi:[0,0,1]
	v_pk_fma_f32 v[104:105], v[72:73], s[20:21], v[128:129] neg_lo:[0,0,1] neg_hi:[0,0,1]
	v_mov_b32_e32 v103, v183
	v_pk_add_f32 v[100:101], v[102:103], v[100:101]
	v_pk_fma_f32 v[102:103], v[76:77], s[46:47], v[170:171] neg_lo:[0,0,1] neg_hi:[0,0,1]
	v_mov_b32_e32 v105, v155
	v_mov_b32_e32 v103, v185
	v_pk_add_f32 v[100:101], v[102:103], v[100:101]
	v_pk_fma_f32 v[102:103], v[80:81], s[22:23], v[172:173] neg_lo:[0,0,1] neg_hi:[0,0,1]
	v_pk_fma_f32 v[38:39], v[70:71], s[24:25], v[38:39] neg_lo:[0,0,1] neg_hi:[0,0,1]
	v_mov_b32_e32 v103, v187
	v_pk_add_f32 v[100:101], v[102:103], v[100:101]
	v_pk_fma_f32 v[102:103], v[84:85], s[6:7], v[174:175] neg_lo:[0,0,1] neg_hi:[0,0,1]
	v_mov_b32_e32 v39, v35
	v_mov_b32_e32 v103, v189
	v_pk_add_f32 v[100:101], v[102:103], v[100:101]
	v_pk_fma_f32 v[102:103], v[70:71], s[6:7], v[124:125] neg_lo:[0,0,1] neg_hi:[0,0,1]
	v_pk_fma_f32 v[34:35], v[72:73], s[0:1], v[42:43] neg_lo:[0,0,1] neg_hi:[0,0,1]
	v_mov_b32_e32 v103, v151
	v_pk_add_f32 v[102:103], v[32:33], v[102:103]
	v_mov_b32_e32 v35, v41
	v_pk_add_f32 v[102:103], v[104:105], v[102:103]
	v_pk_fma_f32 v[104:105], v[74:75], s[22:23], v[142:143] neg_lo:[0,0,1] neg_hi:[0,0,1]
	s_nop 0
	v_mov_b32_e32 v105, v157
	v_pk_add_f32 v[102:103], v[104:105], v[102:103]
	v_pk_fma_f32 v[104:105], v[76:77], s[28:29], v[144:145] neg_lo:[0,0,1] neg_hi:[0,0,1]
	s_nop 0
	;; [unrolled: 4-line block ×4, first 2 shown]
	v_mov_b32_e32 v105, v163
	v_pk_add_f32 v[102:103], v[104:105], v[102:103]
	ds_write2_b64 v59, v[100:101], v[102:103] offset0:8 offset1:9
	v_pk_fma_f32 v[100:101], v[70:71], s[28:29], v[122:123] neg_lo:[0,0,1] neg_hi:[0,0,1]
	v_pk_fma_f32 v[102:103], v[72:73], s[16:17], v[118:119] neg_lo:[0,0,1] neg_hi:[0,0,1]
	v_mov_b32_e32 v101, v127
	v_pk_add_f32 v[100:101], v[32:33], v[100:101]
	v_mov_b32_e32 v103, v131
	v_pk_add_f32 v[32:33], v[32:33], v[38:39]
	v_pk_add_f32 v[100:101], v[102:103], v[100:101]
	v_pk_fma_f32 v[102:103], v[74:75], s[44:45], v[120:121] neg_lo:[0,0,1] neg_hi:[0,0,1]
	v_pk_add_f32 v[32:33], v[34:35], v[32:33]
	v_pk_fma_f32 v[34:35], v[74:75], s[28:29], v[46:47] neg_lo:[0,0,1] neg_hi:[0,0,1]
	v_mov_b32_e32 v103, v133
	v_mov_b32_e32 v35, v45
	v_pk_add_f32 v[100:101], v[102:103], v[100:101]
	v_pk_fma_f32 v[102:103], v[76:77], s[22:23], v[116:117] neg_lo:[0,0,1] neg_hi:[0,0,1]
	v_pk_add_f32 v[32:33], v[34:35], v[32:33]
	v_pk_fma_f32 v[34:35], v[76:77], s[6:7], v[50:51] neg_lo:[0,0,1] neg_hi:[0,0,1]
	v_mov_b32_e32 v103, v135
	v_mov_b32_e32 v35, v49
	;; [unrolled: 6-line block ×4, first 2 shown]
	v_pk_add_f32 v[100:101], v[102:103], v[100:101]
	v_pk_add_f32 v[32:33], v[34:35], v[32:33]
	ds_write2_b64 v59, v[100:101], v[36:37] offset0:10 offset1:11
	ds_write_b64 v59, v[32:33] offset:96
.LBB0_17:
	s_or_b64 exec, exec, s[18:19]
	s_waitcnt lgkmcnt(0)
	; wave barrier
	s_waitcnt lgkmcnt(0)
	ds_read2_b64 v[32:35], v58 offset1:52
	v_mov_b32_e32 v40, v30
	v_mov_b32_e32 v41, v30
	;; [unrolled: 1-line block ×3, first 2 shown]
	ds_read2_b64 v[44:47], v58 offset0:104 offset1:156
	s_waitcnt lgkmcnt(1)
	v_pk_mul_f32 v[42:43], v[30:31], v[34:35] op_sel:[0,1] op_sel_hi:[1,0]
	s_mov_b32 s6, 0xbf0a6770
	v_pk_fma_f32 v[56:57], v[16:17], v[34:35], v[42:43]
	v_pk_mul_f32 v[42:43], v[16:17], v[34:35] op_sel:[0,1] op_sel_hi:[1,0]
	s_waitcnt lgkmcnt(0)
	v_pk_mul_f32 v[18:19], v[18:19], v[44:45]
	v_mov_b32_e32 v30, v43
	v_pk_fma_f32 v[34:35], v[16:17], v[34:35], v[30:31] op_sel:[0,1,0] op_sel_hi:[1,0,1] neg_lo:[0,0,1] neg_hi:[0,0,1]
	v_add_u32_e32 v16, 0x400, v58
	v_add_u32_e32 v42, 0x800, v58
	ds_read2_b64 v[48:51], v16 offset0:80 offset1:132
	ds_read2_b64 v[52:55], v42 offset0:56 offset1:108
	;; [unrolled: 1-line block ×3, first 2 shown]
	ds_read_b64 v[16:17], v58 offset:4160
	v_pk_mul_f32 v[12:13], v[12:13], v[46:47]
	v_pk_fma_f32 v[64:65], v[92:93], v[44:45], v[18:19] op_sel:[0,0,1] op_sel_hi:[1,1,0]
	s_waitcnt lgkmcnt(2)
	v_pk_mul_f32 v[4:5], v[4:5], v[54:55]
	s_waitcnt lgkmcnt(1)
	v_pk_mul_f32 v[6:7], v[6:7], v[70:71]
	v_pk_mul_f32 v[0:1], v[0:1], v[72:73]
	s_waitcnt lgkmcnt(0)
	v_pk_mul_f32 v[2:3], v[2:3], v[16:17]
	v_pk_fma_f32 v[18:19], v[92:93], v[44:45], v[18:19] op_sel:[0,0,1] op_sel_hi:[1,1,0] neg_lo:[0,0,1] neg_hi:[0,0,1]
	v_pk_fma_f32 v[74:75], v[88:89], v[46:47], v[12:13] op_sel:[0,0,1] op_sel_hi:[1,1,0]
	v_pk_fma_f32 v[46:47], v[88:89], v[46:47], v[12:13] op_sel:[0,0,1] op_sel_hi:[1,1,0] neg_lo:[0,0,1] neg_hi:[0,0,1]
	v_pk_fma_f32 v[88:89], v[90:91], v[54:55], v[4:5] op_sel:[0,0,1] op_sel_hi:[1,1,0]
	;; [unrolled: 2-line block ×5, first 2 shown]
	v_pk_fma_f32 v[2:3], v[78:79], v[16:17], v[2:3] op_sel:[0,0,1] op_sel_hi:[1,1,0] neg_lo:[0,0,1] neg_hi:[0,0,1]
	v_mov_b32_e32 v78, v56
	v_mov_b32_e32 v79, v34
	;; [unrolled: 1-line block ×4, first 2 shown]
	v_pk_mul_f32 v[14:15], v[14:15], v[48:49]
	v_pk_add_f32 v[78:79], v[32:33], v[78:79]
	v_mov_b32_e32 v12, v74
	v_mov_b32_e32 v13, v47
	v_pk_fma_f32 v[76:77], v[98:99], v[48:49], v[14:15] op_sel:[0,0,1] op_sel_hi:[1,1,0]
	v_pk_fma_f32 v[14:15], v[98:99], v[48:49], v[14:15] op_sel:[0,0,1] op_sel_hi:[1,1,0] neg_lo:[0,0,1] neg_hi:[0,0,1]
	v_pk_mul_f32 v[8:9], v[8:9], v[50:51]
	v_pk_add_f32 v[44:45], v[78:79], v[44:45]
	v_mov_b32_e32 v48, v76
	v_mov_b32_e32 v49, v15
	v_pk_fma_f32 v[80:81], v[96:97], v[50:51], v[8:9] op_sel:[0,0,1] op_sel_hi:[1,1,0]
	v_pk_fma_f32 v[8:9], v[96:97], v[50:51], v[8:9] op_sel:[0,0,1] op_sel_hi:[1,1,0] neg_lo:[0,0,1] neg_hi:[0,0,1]
	;; [unrolled: 6-line block ×3, first 2 shown]
	v_pk_add_f32 v[12:13], v[12:13], v[48:49]
	v_mov_b32_e32 v52, v84
	v_mov_b32_e32 v53, v11
	v_pk_add_f32 v[12:13], v[12:13], v[50:51]
	v_mov_b32_e32 v4, v88
	v_mov_b32_e32 v5, v55
	;; [unrolled: 3-line block ×5, first 2 shown]
	v_pk_add_f32 v[4:5], v[4:5], v[72:73]
	v_pk_add_f32 v[6:7], v[76:77], v[88:89] neg_lo:[0,1] neg_hi:[0,1]
	v_pk_add_f32 v[44:45], v[4:5], v[16:17]
	v_pk_add_f32 v[4:5], v[76:77], v[88:89]
	v_pk_add_f32 v[48:49], v[14:15], v[54:55] neg_lo:[0,1] neg_hi:[0,1]
	v_mov_b32_e32 v5, v6
	v_pk_add_f32 v[16:17], v[14:15], v[54:55]
	s_mov_b32 s7, 0x3f575c64
	v_pk_add_f32 v[6:7], v[80:81], v[84:85]
	v_pk_add_f32 v[12:13], v[80:81], v[84:85] neg_lo:[0,1] neg_hi:[0,1]
	v_pk_add_f32 v[72:73], v[8:9], v[10:11] neg_lo:[0,1] neg_hi:[0,1]
	v_pk_add_f32 v[14:15], v[8:9], v[10:11]
	v_pk_add_f32 v[8:9], v[56:57], v[82:83]
	v_pk_add_f32 v[10:11], v[56:57], v[82:83] neg_lo:[0,1] neg_hi:[0,1]
	s_mov_b32 s38, 0xbf68dda4
	s_mov_b32 s0, s7
	s_mov_b32 s1, s6
	v_mov_b32_e32 v7, v12
	v_mov_b32_e32 v9, v10
	v_pk_add_f32 v[56:57], v[34:35], v[2:3] op_sel:[0,1] neg_lo:[0,1] neg_hi:[0,1]
	v_pk_add_f32 v[76:77], v[34:35], v[2:3] op_sel_hi:[0,1]
	v_pk_add_f32 v[10:11], v[64:65], v[86:87]
	v_pk_add_f32 v[12:13], v[64:65], v[86:87] neg_lo:[0,1] neg_hi:[0,1]
	s_mov_b32 s39, 0x3ed4b147
	s_mov_b32 s20, 0xbf7d64f0
	v_mov_b32_e32 v76, v56
	v_pk_mul_f32 v[78:79], v[8:9], s[0:1]
	v_mov_b32_e32 v11, v12
	v_pk_add_f32 v[64:65], v[18:19], v[0:1] neg_lo:[0,1] neg_hi:[0,1]
	v_pk_add_f32 v[18:19], v[18:19], v[0:1]
	s_mov_b32 s36, s39
	s_mov_b32 s37, s38
	v_pk_add_f32 v[12:13], v[74:75], v[90:91]
	v_pk_add_f32 v[74:75], v[74:75], v[90:91] neg_lo:[0,1] neg_hi:[0,1]
	s_mov_b32 s21, 0xbe11bafb
	s_mov_b32 s28, 0xbf4178ce
	v_pk_fma_f32 v[2:3], v[56:57], s[6:7], v[78:79] neg_lo:[1,0,0] neg_hi:[1,0,0]
	v_pk_fma_f32 v[80:81], v[76:77], s[6:7], v[78:79]
	v_mov_b32_e32 v18, v65
	v_pk_mul_f32 v[0:1], v[10:11], s[36:37]
	v_mov_b32_e32 v13, v74
	v_pk_add_f32 v[74:75], v[46:47], v[70:71] neg_lo:[0,1] neg_hi:[0,1]
	v_pk_add_f32 v[46:47], v[46:47], v[70:71]
	s_mov_b32 s16, s21
	s_mov_b32 s17, s20
	;; [unrolled: 1-line block ×3, first 2 shown]
	v_mov_b32_e32 v3, v81
	v_pk_fma_f32 v[34:35], v[64:65], s[38:39], v[0:1] op_sel:[1,0,0] neg_lo:[1,0,0] neg_hi:[1,0,0]
	v_pk_fma_f32 v[82:83], v[18:19], s[38:39], v[0:1]
	v_mov_b32_e32 v46, v75
	v_pk_mul_f32 v[70:71], v[12:13], s[16:17]
	s_mov_b32 s40, 0x3e903f40
	s_mov_b32 s22, s29
	;; [unrolled: 1-line block ×3, first 2 shown]
	v_pk_fma_f32 v[78:79], v[76:77], s[6:7], v[78:79] neg_lo:[0,0,1] neg_hi:[0,0,1]
	v_pk_fma_f32 v[0:1], v[18:19], s[38:39], v[0:1] neg_lo:[0,0,1] neg_hi:[0,0,1]
	v_mov_b32_e32 v16, v49
	v_mov_b32_e32 v35, v83
	v_pk_fma_f32 v[84:85], v[74:75], s[20:21], v[70:71] op_sel:[1,0,0] neg_lo:[1,0,0] neg_hi:[1,0,0]
	v_pk_fma_f32 v[86:87], v[46:47], s[20:21], v[70:71]
	v_pk_add_f32 v[2:3], v[32:33], v[2:3]
	s_mov_b32 s41, 0xbf75a155
	v_pk_mul_f32 v[98:99], v[4:5], s[22:23]
	s_mov_b32 s34, 0xbe903f40
	v_mov_b32_e32 v81, v79
	v_mov_b32_e32 v83, v1
	v_pk_fma_f32 v[0:1], v[46:47], s[20:21], v[70:71] neg_lo:[0,0,1] neg_hi:[0,0,1]
	v_mov_b32_e32 v85, v87
	v_pk_add_f32 v[2:3], v[34:35], v[2:3]
	v_pk_fma_f32 v[34:35], v[48:49], s[28:29], v[98:99] op_sel:[1,0,0] neg_lo:[1,0,0] neg_hi:[1,0,0]
	v_pk_fma_f32 v[100:101], v[16:17], s[28:29], v[98:99]
	s_mov_b32 s24, s41
	s_mov_b32 s25, s34
	v_mov_b32_e32 v87, v1
	v_pk_add_f32 v[0:1], v[32:33], v[80:81]
	v_mov_b32_e32 v14, v73
	v_pk_add_f32 v[2:3], v[84:85], v[2:3]
	v_mov_b32_e32 v35, v101
	s_mov_b32 s35, s41
	v_pk_mul_f32 v[102:103], v[6:7], s[24:25]
	v_pk_add_f32 v[0:1], v[82:83], v[0:1]
	v_pk_fma_f32 v[70:71], v[16:17], s[28:29], v[98:99] neg_lo:[0,0,1] neg_hi:[0,0,1]
	v_pk_add_f32 v[2:3], v[34:35], v[2:3]
	v_pk_fma_f32 v[34:35], v[72:73], s[34:35], v[102:103] op_sel:[1,0,0] neg_lo:[1,0,0] neg_hi:[1,0,0]
	v_pk_fma_f32 v[104:105], v[14:15], s[34:35], v[102:103]
	s_mov_b32 s44, 0x3f7d64f0
	v_pk_add_f32 v[0:1], v[86:87], v[0:1]
	v_mov_b32_e32 v101, v71
	v_pk_fma_f32 v[70:71], v[14:15], s[34:35], v[102:103] neg_lo:[0,0,1] neg_hi:[0,0,1]
	v_mov_b32_e32 v35, v105
	s_mov_b32 s26, s21
	s_mov_b32 s27, s44
	v_pk_add_f32 v[0:1], v[100:101], v[0:1]
	v_mov_b32_e32 v105, v71
	v_pk_mul_f32 v[50:51], v[4:5], s[0:1]
	s_mov_b32 s42, s41
	s_mov_b32 s43, s40
	;; [unrolled: 1-line block ×4, first 2 shown]
	v_pk_mul_f32 v[106:107], v[4:5], s[26:27]
	v_pk_mul_f32 v[108:109], v[8:9], s[36:37]
	v_pk_add_f32 v[0:1], v[104:105], v[0:1]
	v_pk_fma_f32 v[52:53], v[48:49], s[6:7], v[50:51] op_sel:[1,0,0] neg_lo:[1,0,0] neg_hi:[1,0,0]
	v_pk_mul_f32 v[88:89], v[10:11], s[42:43]
	s_mov_b32 s18, s39
	s_mov_b32 s19, s30
	v_pk_add_f32 v[34:35], v[34:35], v[2:3]
	v_pk_fma_f32 v[2:3], v[48:49], s[44:45], v[106:107] op_sel:[1,0,0] neg_lo:[1,0,0] neg_hi:[1,0,0]
	v_pk_fma_f32 v[48:49], v[16:17], s[44:45], v[106:107]
	v_pk_fma_f32 v[56:57], v[56:57], s[38:39], v[108:109] neg_lo:[1,0,0] neg_hi:[1,0,0]
	v_pk_fma_f32 v[110:111], v[76:77], s[38:39], v[108:109]
	v_pk_mul_f32 v[112:113], v[10:11], s[22:23]
	s_waitcnt lgkmcnt(0)
	; wave barrier
	ds_write2_b64 v136, v[44:45], v[0:1] offset1:13
	v_pk_fma_f32 v[0:1], v[16:17], s[44:45], v[106:107] neg_lo:[0,0,1] neg_hi:[0,0,1]
	v_pk_fma_f32 v[90:91], v[64:65], s[40:41], v[88:89] op_sel:[1,0,0] neg_lo:[1,0,0] neg_hi:[1,0,0]
	s_mov_b32 s31, s39
	v_pk_mul_f32 v[84:85], v[12:13], s[18:19]
	v_mov_b32_e32 v3, v49
	v_mov_b32_e32 v57, v111
	v_pk_fma_f32 v[64:65], v[64:65], s[28:29], v[112:113] op_sel:[1,0,0] neg_lo:[1,0,0] neg_hi:[1,0,0]
	v_pk_fma_f32 v[114:115], v[18:19], s[28:29], v[112:113]
	v_pk_mul_f32 v[116:117], v[12:13], s[42:43]
	v_mov_b32_e32 v49, v1
	v_pk_fma_f32 v[0:1], v[76:77], s[38:39], v[108:109] neg_lo:[0,0,1] neg_hi:[0,0,1]
	v_pk_fma_f32 v[94:95], v[74:75], s[30:31], v[84:85] op_sel:[1,0,0] neg_lo:[1,0,0] neg_hi:[1,0,0]
	v_mov_b32_e32 v65, v115
	v_pk_fma_f32 v[74:75], v[74:75], s[40:41], v[116:117] op_sel:[1,0,0] neg_lo:[1,0,0] neg_hi:[1,0,0]
	v_pk_fma_f32 v[118:119], v[46:47], s[40:41], v[116:117]
	v_pk_add_f32 v[56:57], v[32:33], v[56:57]
	v_mov_b32_e32 v111, v1
	v_pk_fma_f32 v[0:1], v[18:19], s[28:29], v[112:113] neg_lo:[0,0,1] neg_hi:[0,0,1]
	v_mov_b32_e32 v75, v119
	v_pk_add_f32 v[56:57], v[64:65], v[56:57]
	s_mov_b32 s42, 0x3f0a6770
	v_mov_b32_e32 v115, v1
	v_pk_fma_f32 v[0:1], v[46:47], s[40:41], v[116:117] neg_lo:[0,0,1] neg_hi:[0,0,1]
	v_pk_add_f32 v[56:57], v[74:75], v[56:57]
	s_mov_b32 s36, s7
	s_mov_b32 s37, s42
	v_mov_b32_e32 v119, v1
	v_pk_add_f32 v[0:1], v[32:33], v[110:111]
	v_pk_add_f32 v[2:3], v[2:3], v[56:57]
	s_mov_b32 s43, s7
	v_pk_mul_f32 v[56:57], v[6:7], s[36:37]
	v_pk_add_f32 v[0:1], v[114:115], v[0:1]
	v_pk_fma_f32 v[64:65], v[72:73], s[42:43], v[56:57] op_sel:[1,0,0] neg_lo:[1,0,0] neg_hi:[1,0,0]
	v_pk_fma_f32 v[74:75], v[14:15], s[42:43], v[56:57]
	v_pk_add_f32 v[0:1], v[118:119], v[0:1]
	v_pk_fma_f32 v[44:45], v[14:15], s[42:43], v[56:57] neg_lo:[0,0,1] neg_hi:[0,0,1]
	v_mov_b32_e32 v65, v75
	v_pk_add_f32 v[0:1], v[48:49], v[0:1]
	v_mov_b32_e32 v75, v45
	v_pk_fma_f32 v[54:55], v[16:17], s[6:7], v[50:51]
	v_pk_add_f32 v[44:45], v[74:75], v[0:1]
	v_pk_fma_f32 v[0:1], v[16:17], s[6:7], v[50:51] neg_lo:[0,0,1] neg_hi:[0,0,1]
	v_mov_b32_e32 v53, v55
	v_mov_b32_e32 v55, v1
	v_pk_mul_f32 v[0:1], v[76:77], s[20:21]
	v_pk_fma_f32 v[92:93], v[18:19], s[40:41], v[88:89]
	v_pk_fma_f32 v[48:49], v[8:9], s[16:17], v[0:1]
	v_pk_fma_f32 v[50:51], v[8:9], s[16:17], v[0:1] neg_lo:[1,0,0] neg_hi:[1,0,0]
	v_pk_fma_f32 v[0:1], v[8:9], s[16:17], v[0:1] neg_lo:[0,0,1] neg_hi:[0,0,1]
	v_mov_b32_e32 v50, v48
	v_mov_b32_e32 v1, v49
	v_pk_fma_f32 v[48:49], v[18:19], s[40:41], v[88:89] neg_lo:[0,0,1] neg_hi:[0,0,1]
	v_mov_b32_e32 v91, v93
	v_pk_fma_f32 v[96:97], v[46:47], s[30:31], v[84:85]
	v_pk_add_f32 v[50:51], v[32:33], v[50:51]
	v_pk_add_f32 v[0:1], v[32:33], v[0:1]
	v_mov_b32_e32 v93, v49
	v_mov_b32_e32 v95, v97
	v_pk_add_f32 v[48:49], v[92:93], v[50:51]
	v_pk_add_f32 v[0:1], v[90:91], v[0:1]
	v_pk_fma_f32 v[50:51], v[46:47], s[30:31], v[84:85] neg_lo:[0,0,1] neg_hi:[0,0,1]
	v_pk_add_f32 v[2:3], v[64:65], v[2:3]
	v_pk_mul_f32 v[64:65], v[6:7], s[22:23]
	v_mov_b32_e32 v97, v51
	v_pk_add_f32 v[0:1], v[94:95], v[0:1]
	v_pk_fma_f32 v[72:73], v[72:73], s[28:29], v[64:65] op_sel:[1,0,0] neg_lo:[1,0,0] neg_hi:[1,0,0]
	v_pk_fma_f32 v[120:121], v[14:15], s[28:29], v[64:65]
	v_pk_add_f32 v[48:49], v[96:97], v[48:49]
	v_pk_add_f32 v[0:1], v[52:53], v[0:1]
	v_pk_fma_f32 v[50:51], v[14:15], s[28:29], v[64:65] neg_lo:[0,0,1] neg_hi:[0,0,1]
	v_pk_mul_f32 v[52:53], v[76:77], s[28:29]
	v_mov_b32_e32 v73, v121
	v_pk_add_f32 v[48:49], v[54:55], v[48:49]
	v_mov_b32_e32 v121, v51
	v_pk_fma_f32 v[54:55], v[8:9], s[22:23], v[52:53]
	v_pk_fma_f32 v[56:57], v[8:9], s[22:23], v[52:53] neg_lo:[1,0,0] neg_hi:[1,0,0]
	v_pk_mul_f32 v[64:65], v[18:19], s[44:45]
	v_pk_add_f32 v[48:49], v[120:121], v[48:49]
	v_pk_add_f32 v[0:1], v[72:73], v[0:1]
	v_mov_b32_e32 v56, v54
	v_pk_fma_f32 v[70:71], v[10:11], s[26:27], v[64:65]
	v_pk_fma_f32 v[72:73], v[10:11], s[26:27], v[64:65] neg_lo:[1,0,0] neg_hi:[1,0,0]
	v_pk_mul_f32 v[74:75], v[46:47], s[6:7]
	ds_write2_b64 v136, v[44:45], v[48:49] offset0:26 offset1:39
	v_pk_mul_f32 v[44:45], v[16:17], s[34:35]
	v_mov_b32_e32 v72, v70
	v_pk_fma_f32 v[78:79], v[12:13], s[0:1], v[74:75]
	v_pk_fma_f32 v[80:81], v[12:13], s[0:1], v[74:75] neg_lo:[1,0,0] neg_hi:[1,0,0]
	v_pk_add_f32 v[56:57], v[32:33], v[56:57]
	v_pk_fma_f32 v[48:49], v[4:5], s[24:25], v[44:45]
	v_pk_fma_f32 v[50:51], v[4:5], s[24:25], v[44:45] neg_lo:[1,0,0] neg_hi:[1,0,0]
	v_mov_b32_e32 v80, v78
	v_pk_add_f32 v[56:57], v[72:73], v[56:57]
	v_mov_b32_e32 v50, v48
	v_pk_add_f32 v[56:57], v[80:81], v[56:57]
	v_pk_mul_f32 v[76:77], v[76:77], s[34:35]
	v_pk_add_f32 v[50:51], v[50:51], v[56:57]
	v_pk_mul_f32 v[56:57], v[14:15], s[30:31]
	v_pk_fma_f32 v[84:85], v[8:9], s[24:25], v[76:77]
	v_pk_fma_f32 v[86:87], v[8:9], s[24:25], v[76:77] neg_lo:[1,0,0] neg_hi:[1,0,0]
	v_pk_mul_f32 v[18:19], v[18:19], s[42:43]
	v_pk_fma_f32 v[72:73], v[6:7], s[18:19], v[56:57]
	v_pk_fma_f32 v[80:81], v[6:7], s[18:19], v[56:57] neg_lo:[1,0,0] neg_hi:[1,0,0]
	v_mov_b32_e32 v86, v84
	v_pk_fma_f32 v[88:89], v[10:11], s[36:37], v[18:19]
	v_pk_fma_f32 v[90:91], v[10:11], s[36:37], v[18:19] neg_lo:[1,0,0] neg_hi:[1,0,0]
	v_pk_mul_f32 v[46:47], v[46:47], s[28:29]
	v_mov_b32_e32 v80, v72
	v_pk_mul_f32 v[16:17], v[16:17], s[30:31]
	v_mov_b32_e32 v90, v88
	v_pk_fma_f32 v[92:93], v[12:13], s[22:23], v[46:47]
	v_pk_fma_f32 v[94:95], v[12:13], s[22:23], v[46:47] neg_lo:[1,0,0] neg_hi:[1,0,0]
	v_pk_add_f32 v[86:87], v[32:33], v[86:87]
	v_pk_add_f32 v[50:51], v[80:81], v[50:51]
	v_pk_fma_f32 v[80:81], v[4:5], s[18:19], v[16:17]
	v_pk_fma_f32 v[82:83], v[4:5], s[18:19], v[16:17] neg_lo:[1,0,0] neg_hi:[1,0,0]
	v_mov_b32_e32 v94, v92
	v_pk_add_f32 v[86:87], v[90:91], v[86:87]
	v_mov_b32_e32 v82, v80
	v_pk_add_f32 v[86:87], v[94:95], v[86:87]
	v_pk_mul_f32 v[14:15], v[14:15], s[20:21]
	v_pk_add_f32 v[82:83], v[82:83], v[86:87]
	v_pk_fma_f32 v[86:87], v[6:7], s[16:17], v[14:15]
	v_pk_fma_f32 v[90:91], v[6:7], s[16:17], v[14:15] neg_lo:[1,0,0] neg_hi:[1,0,0]
	v_pk_fma_f32 v[18:19], v[10:11], s[36:37], v[18:19] neg_lo:[0,0,1] neg_hi:[0,0,1]
	v_mov_b32_e32 v90, v86
	v_pk_add_f32 v[82:83], v[90:91], v[82:83]
	ds_write2_b64 v136, v[50:51], v[82:83] offset0:52 offset1:65
	v_pk_fma_f32 v[50:51], v[8:9], s[24:25], v[76:77] neg_lo:[0,0,1] neg_hi:[0,0,1]
	v_pk_fma_f32 v[8:9], v[8:9], s[22:23], v[52:53] neg_lo:[0,0,1] neg_hi:[0,0,1]
	v_mov_b32_e32 v51, v85
	v_mov_b32_e32 v9, v55
	v_pk_fma_f32 v[10:11], v[10:11], s[26:27], v[64:65] neg_lo:[0,0,1] neg_hi:[0,0,1]
	v_mov_b32_e32 v19, v89
	v_pk_fma_f32 v[46:47], v[12:13], s[22:23], v[46:47] neg_lo:[0,0,1] neg_hi:[0,0,1]
	v_pk_add_f32 v[50:51], v[32:33], v[50:51]
	v_mov_b32_e32 v11, v71
	v_pk_fma_f32 v[12:13], v[12:13], s[0:1], v[74:75] neg_lo:[0,0,1] neg_hi:[0,0,1]
	v_pk_add_f32 v[8:9], v[32:33], v[8:9]
	v_pk_fma_f32 v[16:17], v[4:5], s[18:19], v[16:17] neg_lo:[0,0,1] neg_hi:[0,0,1]
	v_mov_b32_e32 v47, v93
	v_pk_add_f32 v[18:19], v[18:19], v[50:51]
	v_pk_fma_f32 v[4:5], v[4:5], s[24:25], v[44:45] neg_lo:[0,0,1] neg_hi:[0,0,1]
	v_mov_b32_e32 v13, v79
	v_pk_add_f32 v[8:9], v[10:11], v[8:9]
	v_mov_b32_e32 v17, v81
	v_pk_add_f32 v[18:19], v[46:47], v[18:19]
	v_pk_fma_f32 v[14:15], v[6:7], s[16:17], v[14:15] neg_lo:[0,0,1] neg_hi:[0,0,1]
	v_mov_b32_e32 v5, v49
	v_pk_add_f32 v[8:9], v[12:13], v[8:9]
	v_pk_fma_f32 v[6:7], v[6:7], s[18:19], v[56:57] neg_lo:[0,0,1] neg_hi:[0,0,1]
	v_pk_add_f32 v[16:17], v[16:17], v[18:19]
	v_mov_b32_e32 v15, v87
	v_pk_add_f32 v[4:5], v[4:5], v[8:9]
	v_mov_b32_e32 v7, v73
	v_pk_add_f32 v[14:15], v[14:15], v[16:17]
	v_pk_add_f32 v[4:5], v[6:7], v[4:5]
	ds_write2_b64 v136, v[14:15], v[4:5] offset0:78 offset1:91
	ds_write2_b64 v136, v[0:1], v[2:3] offset0:104 offset1:117
	ds_write_b64 v136, v[34:35] offset:1040
	s_waitcnt lgkmcnt(0)
	; wave barrier
	s_waitcnt lgkmcnt(0)
	ds_read2_b64 v[4:7], v58 offset1:52
	ds_read2_b64 v[16:19], v58 offset0:143 offset1:195
	ds_read2_b64 v[12:15], v42 offset0:30 offset1:82
	;; [unrolled: 1-line block ×3, first 2 shown]
	v_mov_b32_e32 v38, v28
	v_mov_b32_e32 v39, v28
	;; [unrolled: 1-line block ×7, first 2 shown]
	s_and_saveexec_b64 s[0:1], s[2:3]
	s_cbranch_execz .LBB0_19
; %bb.18:
	v_add_u32_e32 v34, 0xc00, v58
	ds_read2_b64 v[0:3], v58 offset0:104 offset1:247
	ds_read2_b64 v[34:37], v34 offset0:6 offset1:149
.LBB0_19:
	s_or_b64 exec, exec, s[0:1]
	s_waitcnt lgkmcnt(2)
	v_pk_mul_f32 v[44:45], v[24:25], v[16:17] op_sel:[1,0]
	s_waitcnt lgkmcnt(1)
	v_pk_mul_f32 v[46:47], v[26:27], v[12:13] op_sel:[1,0]
	v_pk_fma_f32 v[52:53], v[24:25], v[16:17], v[44:45] op_sel:[0,0,1] op_sel_hi:[1,1,0]
	v_pk_fma_f32 v[16:17], v[24:25], v[16:17], v[44:45] op_sel:[0,0,1] op_sel_hi:[0,1,0] neg_lo:[0,0,1] neg_hi:[0,0,1]
	s_waitcnt lgkmcnt(0)
	v_pk_mul_f32 v[48:49], v[66:67], v[8:9] op_sel:[1,0]
	v_mov_b32_e32 v53, v17
	v_pk_fma_f32 v[16:17], v[26:27], v[12:13], v[46:47] op_sel:[0,0,1] op_sel_hi:[1,1,0]
	v_pk_fma_f32 v[12:13], v[26:27], v[12:13], v[46:47] op_sel:[0,0,1] op_sel_hi:[0,1,0] neg_lo:[0,0,1] neg_hi:[0,0,1]
	v_mov_b32_e32 v17, v13
	v_pk_fma_f32 v[12:13], v[66:67], v[8:9], v[48:49] op_sel:[0,0,1] op_sel_hi:[1,1,0]
	v_pk_fma_f32 v[8:9], v[66:67], v[8:9], v[48:49] op_sel:[0,0,1] op_sel_hi:[0,1,0] neg_lo:[0,0,1] neg_hi:[0,0,1]
	v_mov_b32_e32 v13, v9
	v_pk_add_f32 v[8:9], v[4:5], v[16:17] neg_lo:[0,1] neg_hi:[0,1]
	v_pk_add_f32 v[12:13], v[52:53], v[12:13] neg_lo:[0,1] neg_hi:[0,1]
	v_pk_mul_f32 v[28:29], v[28:29], v[18:19]
	v_pk_fma_f32 v[16:17], v[52:53], 2.0, v[12:13] op_sel_hi:[1,0,1] neg_lo:[0,0,1] neg_hi:[0,0,1]
	v_pk_add_f32 v[24:25], v[8:9], v[12:13] op_sel:[0,1] op_sel_hi:[1,0]
	v_pk_add_f32 v[12:13], v[8:9], v[12:13] op_sel:[0,1] op_sel_hi:[1,0] neg_lo:[0,1] neg_hi:[0,1]
	v_pk_mul_f32 v[30:31], v[30:31], v[14:15]
	v_mov_b32_e32 v25, v13
	v_pk_fma_f32 v[12:13], v[38:39], v[18:19], v[28:29] op_sel:[0,0,1] op_sel_hi:[1,1,0]
	v_pk_fma_f32 v[18:19], v[38:39], v[18:19], v[28:29] op_sel:[0,0,1] op_sel_hi:[1,1,0] neg_lo:[0,0,1] neg_hi:[0,0,1]
	v_pk_mul_f32 v[50:51], v[68:69], v[10:11]
	v_mov_b32_e32 v13, v19
	v_pk_fma_f32 v[18:19], v[40:41], v[14:15], v[30:31] op_sel:[0,0,1] op_sel_hi:[1,1,0]
	v_pk_fma_f32 v[14:15], v[40:41], v[14:15], v[30:31] op_sel:[0,0,1] op_sel_hi:[1,1,0] neg_lo:[0,0,1] neg_hi:[0,0,1]
	v_pk_fma_f32 v[4:5], v[4:5], 2.0, v[8:9] op_sel_hi:[1,0,1] neg_lo:[0,0,1] neg_hi:[0,0,1]
	v_mov_b32_e32 v19, v15
	v_pk_fma_f32 v[14:15], v[32:33], v[10:11], v[50:51] op_sel:[0,0,1] op_sel_hi:[1,1,0]
	v_pk_fma_f32 v[10:11], v[32:33], v[10:11], v[50:51] op_sel:[0,0,1] op_sel_hi:[1,1,0] neg_lo:[0,0,1] neg_hi:[0,0,1]
	v_pk_add_f32 v[16:17], v[4:5], v[16:17] neg_lo:[0,1] neg_hi:[0,1]
	v_mov_b32_e32 v15, v11
	v_pk_add_f32 v[10:11], v[6:7], v[18:19] neg_lo:[0,1] neg_hi:[0,1]
	v_pk_add_f32 v[14:15], v[12:13], v[14:15] neg_lo:[0,1] neg_hi:[0,1]
	v_pk_fma_f32 v[6:7], v[6:7], 2.0, v[10:11] op_sel_hi:[1,0,1] neg_lo:[0,0,1] neg_hi:[0,0,1]
	v_pk_fma_f32 v[12:13], v[12:13], 2.0, v[14:15] op_sel_hi:[1,0,1] neg_lo:[0,0,1] neg_hi:[0,0,1]
	;; [unrolled: 1-line block ×3, first 2 shown]
	v_pk_add_f32 v[12:13], v[6:7], v[12:13] neg_lo:[0,1] neg_hi:[0,1]
	v_pk_fma_f32 v[8:9], v[8:9], 2.0, v[24:25] op_sel_hi:[1,0,1] neg_lo:[0,0,1] neg_hi:[0,0,1]
	v_pk_fma_f32 v[6:7], v[6:7], 2.0, v[12:13] op_sel_hi:[1,0,1] neg_lo:[0,0,1] neg_hi:[0,0,1]
	ds_write2_b64 v58, v[4:5], v[6:7] offset1:52
	v_pk_add_f32 v[4:5], v[10:11], v[14:15] op_sel:[0,1] op_sel_hi:[1,0]
	v_pk_add_f32 v[6:7], v[10:11], v[14:15] op_sel:[0,1] op_sel_hi:[1,0] neg_lo:[0,1] neg_hi:[0,1]
	s_nop 0
	v_mov_b32_e32 v5, v7
	v_pk_fma_f32 v[6:7], v[10:11], 2.0, v[4:5] op_sel_hi:[1,0,1] neg_lo:[0,0,1] neg_hi:[0,0,1]
	ds_write2_b64 v58, v[8:9], v[6:7] offset0:143 offset1:195
	ds_write2_b64 v42, v[16:17], v[12:13] offset0:30 offset1:82
	;; [unrolled: 1-line block ×3, first 2 shown]
	s_and_saveexec_b64 s[0:1], s[2:3]
	s_cbranch_execz .LBB0_21
; %bb.20:
	v_pk_mul_f32 v[4:5], v[22:23], v[34:35] op_sel:[0,1]
	v_pk_mul_f32 v[6:7], v[20:21], v[2:3] op_sel:[0,1]
	v_pk_fma_f32 v[10:11], v[22:23], v[34:35], v[4:5] op_sel:[0,0,1] op_sel_hi:[1,1,0]
	v_pk_fma_f32 v[4:5], v[22:23], v[34:35], v[4:5] op_sel:[0,0,1] op_sel_hi:[1,0,0] neg_lo:[1,0,0] neg_hi:[1,0,0]
	v_pk_mul_f32 v[8:9], v[62:63], v[36:37] op_sel:[0,1]
	v_mov_b32_e32 v11, v5
	v_pk_add_f32 v[4:5], v[0:1], v[10:11] neg_lo:[0,1] neg_hi:[0,1]
	v_pk_fma_f32 v[10:11], v[20:21], v[2:3], v[6:7] op_sel:[0,0,1] op_sel_hi:[1,1,0]
	v_pk_fma_f32 v[2:3], v[20:21], v[2:3], v[6:7] op_sel:[0,0,1] op_sel_hi:[1,0,0] neg_lo:[1,0,0] neg_hi:[1,0,0]
	v_pk_fma_f32 v[6:7], v[62:63], v[36:37], v[8:9] op_sel:[0,0,1] op_sel_hi:[1,0,0] neg_lo:[1,0,0] neg_hi:[1,0,0]
	v_mov_b32_e32 v11, v3
	v_pk_fma_f32 v[2:3], v[62:63], v[36:37], v[8:9] op_sel:[0,0,1] op_sel_hi:[1,1,0]
	v_pk_fma_f32 v[0:1], v[0:1], 2.0, v[4:5] op_sel_hi:[1,0,1] neg_lo:[0,0,1] neg_hi:[0,0,1]
	v_mov_b32_e32 v3, v7
	v_pk_add_f32 v[2:3], v[10:11], v[2:3] neg_lo:[0,1] neg_hi:[0,1]
	s_nop 0
	v_pk_fma_f32 v[6:7], v[10:11], 2.0, v[2:3] op_sel_hi:[1,0,1] neg_lo:[0,0,1] neg_hi:[0,0,1]
	v_pk_add_f32 v[8:9], v[4:5], v[2:3] op_sel:[0,1] op_sel_hi:[1,0]
	v_pk_add_f32 v[2:3], v[4:5], v[2:3] op_sel:[0,1] op_sel_hi:[1,0] neg_lo:[0,1] neg_hi:[0,1]
	v_pk_add_f32 v[6:7], v[0:1], v[6:7] neg_lo:[0,1] neg_hi:[0,1]
	v_mov_b32_e32 v9, v3
	v_pk_fma_f32 v[0:1], v[0:1], 2.0, v[6:7] op_sel_hi:[1,0,1] neg_lo:[0,0,1] neg_hi:[0,0,1]
	v_pk_fma_f32 v[2:3], v[4:5], 2.0, v[8:9] op_sel_hi:[1,0,1] neg_lo:[0,0,1] neg_hi:[0,0,1]
	ds_write2_b64 v58, v[0:1], v[2:3] offset0:104 offset1:247
	v_add_u32_e32 v0, 0xc00, v58
	ds_write2_b64 v0, v[6:7], v[8:9] offset0:6 offset1:149
.LBB0_21:
	s_or_b64 exec, exec, s[0:1]
	s_waitcnt lgkmcnt(0)
	; wave barrier
	s_waitcnt lgkmcnt(0)
	s_and_b64 exec, exec, s[4:5]
	s_cbranch_execz .LBB0_23
; %bb.22:
	global_load_dwordx2 v[10:11], v58, s[12:13]
	global_load_dwordx2 v[12:13], v58, s[12:13] offset:352
	global_load_dwordx2 v[14:15], v58, s[12:13] offset:704
	;; [unrolled: 1-line block ×3, first 2 shown]
	ds_read_b64 v[18:19], v58
	global_load_dwordx2 v[22:23], v58, s[12:13] offset:1408
	ds_read2_b64 v[2:5], v58 offset0:44 offset1:88
	ds_read2_b64 v[6:9], v58 offset0:132 offset1:176
	global_load_dwordx2 v[28:29], v58, s[12:13] offset:1760
	global_load_dwordx2 v[30:31], v58, s[12:13] offset:2112
	v_mad_u64_u32 v[26:27], s[2:3], s8, v61, 0
	v_mov_b32_e32 v34, v27
	v_mad_u64_u32 v[34:35], s[4:5], s9, v61, v[34:35]
	v_mov_b32_e32 v27, v34
	;; [unrolled: 2-line block ×4, first 2 shown]
	v_mov_b32_e32 v21, s15
	v_mov_b32_e32 v25, v32
	v_lshl_add_u64 v[20:21], v[24:25], 3, v[20:21]
	s_mov_b32 s0, 0x55ee191
	v_mov_b32_e32 v38, 0x160
	v_lshl_add_u64 v[20:21], v[26:27], 3, v[20:21]
	s_mov_b32 s1, 0x3f5ca4b3
	s_mul_i32 s2, s9, 0x160
	v_mad_u64_u32 v[24:25], s[4:5], s8, v38, v[20:21]
	v_add_u32_e32 v25, s2, v25
	v_mad_u64_u32 v[26:27], s[4:5], s8, v38, v[24:25]
	v_add_u32_e32 v27, s2, v27
	;; [unrolled: 2-line block ×3, first 2 shown]
	v_mov_b32_e32 v59, 0
	v_lshl_add_u64 v[0:1], s[12:13], 0, v[58:59]
	s_movk_i32 s3, 0x1000
	v_add_co_u32_e32 v0, vcc, s3, v0
	s_waitcnt vmcnt(6) lgkmcnt(2)
	v_mul_f32_e32 v34, v19, v11
	v_mul_f32_e32 v11, v18, v11
	s_waitcnt vmcnt(4) lgkmcnt(1)
	v_mul_f32_e32 v36, v5, v15
	s_waitcnt vmcnt(3) lgkmcnt(0)
	v_mul_f32_e32 v37, v7, v17
	v_mul_f32_e32 v17, v6, v17
	v_fmac_f32_e32 v37, v6, v16
	v_fma_f32 v39, v16, v7, -v17
	global_load_dwordx2 v[6:7], v58, s[12:13] offset:2464
	v_mul_f32_e32 v15, v4, v15
	v_fmac_f32_e32 v34, v18, v10
	v_fmac_f32_e32 v36, v4, v14
	v_fma_f32 v18, v14, v5, -v15
	v_fma_f32 v10, v10, v19, -v11
	v_cvt_f64_f32_e32 v[14:15], v36
	v_cvt_f64_f32_e32 v[16:17], v18
	;; [unrolled: 1-line block ×3, first 2 shown]
	global_load_dwordx2 v[36:37], v58, s[12:13] offset:2816
	v_mul_f32_e32 v35, v3, v13
	v_mul_f32_e32 v13, v2, v13
	v_fmac_f32_e32 v35, v2, v12
	v_fma_f32 v12, v12, v3, -v13
	v_cvt_f64_f32_e32 v[2:3], v34
	v_cvt_f64_f32_e32 v[4:5], v10
	;; [unrolled: 1-line block ×4, first 2 shown]
	v_mul_f64 v[2:3], v[2:3], s[0:1]
	v_mul_f64 v[4:5], v[4:5], s[0:1]
	;; [unrolled: 1-line block ×6, first 2 shown]
	v_cvt_f32_f64_e32 v2, v[2:3]
	v_cvt_f32_f64_e32 v3, v[4:5]
	;; [unrolled: 1-line block ×6, first 2 shown]
	global_store_dwordx2 v[20:21], v[2:3], off
	global_store_dwordx2 v[24:25], v[4:5], off
	;; [unrolled: 1-line block ×3, first 2 shown]
	global_load_dwordx2 v[10:11], v58, s[12:13] offset:3168
	s_waitcnt vmcnt(8)
	v_mul_f32_e32 v2, v9, v23
	v_cvt_f64_f32_e32 v[34:35], v39
	v_fmac_f32_e32 v2, v8, v22
	v_mul_f64 v[18:19], v[18:19], s[0:1]
	v_mul_f64 v[34:35], v[34:35], s[0:1]
	v_cvt_f64_f32_e32 v[2:3], v2
	v_cvt_f32_f64_e32 v12, v[18:19]
	v_cvt_f32_f64_e32 v13, v[34:35]
	v_mul_f64 v[2:3], v[2:3], s[0:1]
	global_store_dwordx2 v[32:33], v[12:13], off
	v_cvt_f32_f64_e32 v12, v[2:3]
	v_mul_f32_e32 v2, v8, v23
	v_fma_f32 v2, v22, v9, -v2
	global_load_dwordx2 v[8:9], v58, s[12:13] offset:3520
	global_load_dwordx2 v[16:17], v58, s[12:13] offset:3872
	v_cvt_f64_f32_e32 v[2:3], v2
	v_mul_f64 v[2:3], v[2:3], s[0:1]
	v_cvt_f32_f64_e32 v13, v[2:3]
	v_add_u32_e32 v2, 0x400, v58
	ds_read2_b64 v[2:5], v2 offset0:92 offset1:136
	v_mad_u64_u32 v[14:15], s[4:5], s8, v38, v[32:33]
	v_add_u32_e32 v15, s2, v15
	global_store_dwordx2 v[14:15], v[12:13], off
	s_waitcnt vmcnt(11) lgkmcnt(0)
	v_mul_f32_e32 v12, v3, v29
	v_fmac_f32_e32 v12, v2, v28
	v_mul_f32_e32 v2, v2, v29
	v_fma_f32 v2, v28, v3, -v2
	v_cvt_f64_f32_e32 v[12:13], v12
	v_cvt_f64_f32_e32 v[2:3], v2
	v_mul_f64 v[12:13], v[12:13], s[0:1]
	v_mul_f64 v[2:3], v[2:3], s[0:1]
	v_cvt_f32_f64_e32 v12, v[12:13]
	v_cvt_f32_f64_e32 v13, v[2:3]
	s_waitcnt vmcnt(10)
	v_mul_f32_e32 v2, v5, v31
	v_fmac_f32_e32 v2, v4, v30
	v_mad_u64_u32 v[14:15], s[4:5], s8, v38, v[14:15]
	v_cvt_f64_f32_e32 v[2:3], v2
	v_add_u32_e32 v15, s2, v15
	v_mul_f64 v[2:3], v[2:3], s[0:1]
	global_store_dwordx2 v[14:15], v[12:13], off
	v_cvt_f32_f64_e32 v12, v[2:3]
	v_mul_f32_e32 v2, v4, v31
	v_fma_f32 v2, v30, v5, -v2
	v_cvt_f64_f32_e32 v[2:3], v2
	v_mul_f64 v[2:3], v[2:3], s[0:1]
	v_add_u32_e32 v18, 0x800, v58
	v_cvt_f32_f64_e32 v13, v[2:3]
	ds_read2_b64 v[2:5], v18 offset0:52 offset1:96
	v_mad_u64_u32 v[14:15], s[4:5], s8, v38, v[14:15]
	v_add_u32_e32 v15, s2, v15
	global_store_dwordx2 v[14:15], v[12:13], off
	s_waitcnt vmcnt(11) lgkmcnt(0)
	v_mul_f32_e32 v12, v3, v7
	v_fmac_f32_e32 v12, v2, v6
	v_mul_f32_e32 v2, v2, v7
	v_fma_f32 v2, v6, v3, -v2
	v_cvt_f64_f32_e32 v[12:13], v12
	v_cvt_f64_f32_e32 v[2:3], v2
	v_mul_f64 v[12:13], v[12:13], s[0:1]
	v_mul_f64 v[2:3], v[2:3], s[0:1]
	v_cvt_f32_f64_e32 v12, v[12:13]
	v_cvt_f32_f64_e32 v13, v[2:3]
	s_waitcnt vmcnt(10)
	v_mul_f32_e32 v2, v5, v37
	v_fmac_f32_e32 v2, v4, v36
	v_mad_u64_u32 v[6:7], s[4:5], s8, v38, v[14:15]
	v_cvt_f64_f32_e32 v[2:3], v2
	v_add_u32_e32 v7, s2, v7
	v_mul_f64 v[2:3], v[2:3], s[0:1]
	global_store_dwordx2 v[6:7], v[12:13], off
	v_cvt_f32_f64_e32 v12, v[2:3]
	v_mul_f32_e32 v2, v4, v37
	v_fma_f32 v2, v36, v5, -v2
	v_cvt_f64_f32_e32 v[2:3], v2
	v_mul_f64 v[2:3], v[2:3], s[0:1]
	v_cvt_f32_f64_e32 v13, v[2:3]
	ds_read2_b64 v[2:5], v18 offset0:140 offset1:184
	v_mad_u64_u32 v[6:7], s[4:5], s8, v38, v[6:7]
	v_add_u32_e32 v7, s2, v7
	global_store_dwordx2 v[6:7], v[12:13], off
	s_waitcnt vmcnt(8) lgkmcnt(0)
	v_mul_f32_e32 v12, v3, v11
	v_fmac_f32_e32 v12, v2, v10
	v_mul_f32_e32 v2, v2, v11
	v_fma_f32 v2, v10, v3, -v2
	v_cvt_f64_f32_e32 v[12:13], v12
	v_cvt_f64_f32_e32 v[2:3], v2
	v_mul_f64 v[12:13], v[12:13], s[0:1]
	v_mul_f64 v[2:3], v[2:3], s[0:1]
	v_cvt_f32_f64_e32 v12, v[12:13]
	v_cvt_f32_f64_e32 v13, v[2:3]
	s_waitcnt vmcnt(6)
	v_mul_f32_e32 v2, v5, v9
	v_fmac_f32_e32 v2, v4, v8
	v_cvt_f64_f32_e32 v[2:3], v2
	v_mul_f64 v[2:3], v[2:3], s[0:1]
	v_cvt_f32_f64_e32 v10, v[2:3]
	v_mul_f32_e32 v2, v4, v9
	v_fma_f32 v2, v8, v5, -v2
	v_cvt_f64_f32_e32 v[2:3], v2
	v_mul_f64 v[2:3], v[2:3], s[0:1]
	v_cvt_f32_f64_e32 v11, v[2:3]
	v_add_u32_e32 v2, 0xc00, v58
	ds_read2_b64 v[2:5], v2 offset0:100 offset1:144
	v_mad_u64_u32 v[6:7], s[4:5], s8, v38, v[6:7]
	v_add_u32_e32 v7, s2, v7
	global_store_dwordx2 v[6:7], v[12:13], off
	s_waitcnt vmcnt(6) lgkmcnt(0)
	v_mul_f32_e32 v8, v3, v17
	v_fmac_f32_e32 v8, v2, v16
	v_mul_f32_e32 v2, v2, v17
	v_fma_f32 v2, v16, v3, -v2
	v_mad_u64_u32 v[6:7], s[4:5], s8, v38, v[6:7]
	v_cvt_f64_f32_e32 v[8:9], v8
	v_cvt_f64_f32_e32 v[2:3], v2
	v_add_u32_e32 v7, s2, v7
	v_mul_f64 v[8:9], v[8:9], s[0:1]
	v_mul_f64 v[2:3], v[2:3], s[0:1]
	v_cvt_f32_f64_e32 v8, v[8:9]
	v_cvt_f32_f64_e32 v9, v[2:3]
	v_mad_u64_u32 v[2:3], s[4:5], s8, v38, v[6:7]
	v_add_u32_e32 v3, s2, v3
	global_store_dwordx2 v[6:7], v[10:11], off
	global_store_dwordx2 v[2:3], v[8:9], off
	v_addc_co_u32_e32 v1, vcc, 0, v1, vcc
	global_load_dwordx2 v[0:1], v[0:1], off offset:128
	s_waitcnt vmcnt(0)
	v_mul_f32_e32 v6, v5, v1
	v_mul_f32_e32 v1, v4, v1
	v_fmac_f32_e32 v6, v4, v0
	v_fma_f32 v0, v0, v5, -v1
	v_cvt_f64_f32_e32 v[6:7], v6
	v_cvt_f64_f32_e32 v[0:1], v0
	v_mul_f64 v[6:7], v[6:7], s[0:1]
	v_mul_f64 v[0:1], v[0:1], s[0:1]
	v_cvt_f32_f64_e32 v6, v[6:7]
	v_cvt_f32_f64_e32 v7, v[0:1]
	v_mad_u64_u32 v[0:1], s[0:1], s8, v38, v[2:3]
	v_add_u32_e32 v1, s2, v1
	global_store_dwordx2 v[0:1], v[6:7], off
.LBB0_23:
	s_endpgm
	.section	.rodata,"a",@progbits
	.p2align	6, 0x0
	.amdhsa_kernel bluestein_single_back_len572_dim1_sp_op_CI_CI
		.amdhsa_group_segment_fixed_size 4576
		.amdhsa_private_segment_fixed_size 0
		.amdhsa_kernarg_size 104
		.amdhsa_user_sgpr_count 2
		.amdhsa_user_sgpr_dispatch_ptr 0
		.amdhsa_user_sgpr_queue_ptr 0
		.amdhsa_user_sgpr_kernarg_segment_ptr 1
		.amdhsa_user_sgpr_dispatch_id 0
		.amdhsa_user_sgpr_kernarg_preload_length 0
		.amdhsa_user_sgpr_kernarg_preload_offset 0
		.amdhsa_user_sgpr_private_segment_size 0
		.amdhsa_uses_dynamic_stack 0
		.amdhsa_enable_private_segment 0
		.amdhsa_system_sgpr_workgroup_id_x 1
		.amdhsa_system_sgpr_workgroup_id_y 0
		.amdhsa_system_sgpr_workgroup_id_z 0
		.amdhsa_system_sgpr_workgroup_info 0
		.amdhsa_system_vgpr_workitem_id 0
		.amdhsa_next_free_vgpr 202
		.amdhsa_next_free_sgpr 56
		.amdhsa_accum_offset 204
		.amdhsa_reserve_vcc 1
		.amdhsa_float_round_mode_32 0
		.amdhsa_float_round_mode_16_64 0
		.amdhsa_float_denorm_mode_32 3
		.amdhsa_float_denorm_mode_16_64 3
		.amdhsa_dx10_clamp 1
		.amdhsa_ieee_mode 1
		.amdhsa_fp16_overflow 0
		.amdhsa_tg_split 0
		.amdhsa_exception_fp_ieee_invalid_op 0
		.amdhsa_exception_fp_denorm_src 0
		.amdhsa_exception_fp_ieee_div_zero 0
		.amdhsa_exception_fp_ieee_overflow 0
		.amdhsa_exception_fp_ieee_underflow 0
		.amdhsa_exception_fp_ieee_inexact 0
		.amdhsa_exception_int_div_zero 0
	.end_amdhsa_kernel
	.text
.Lfunc_end0:
	.size	bluestein_single_back_len572_dim1_sp_op_CI_CI, .Lfunc_end0-bluestein_single_back_len572_dim1_sp_op_CI_CI
                                        ; -- End function
	.section	.AMDGPU.csdata,"",@progbits
; Kernel info:
; codeLenInByte = 14148
; NumSgprs: 62
; NumVgprs: 202
; NumAgprs: 0
; TotalNumVgprs: 202
; ScratchSize: 0
; MemoryBound: 0
; FloatMode: 240
; IeeeMode: 1
; LDSByteSize: 4576 bytes/workgroup (compile time only)
; SGPRBlocks: 7
; VGPRBlocks: 25
; NumSGPRsForWavesPerEU: 62
; NumVGPRsForWavesPerEU: 202
; AccumOffset: 204
; Occupancy: 2
; WaveLimiterHint : 1
; COMPUTE_PGM_RSRC2:SCRATCH_EN: 0
; COMPUTE_PGM_RSRC2:USER_SGPR: 2
; COMPUTE_PGM_RSRC2:TRAP_HANDLER: 0
; COMPUTE_PGM_RSRC2:TGID_X_EN: 1
; COMPUTE_PGM_RSRC2:TGID_Y_EN: 0
; COMPUTE_PGM_RSRC2:TGID_Z_EN: 0
; COMPUTE_PGM_RSRC2:TIDIG_COMP_CNT: 0
; COMPUTE_PGM_RSRC3_GFX90A:ACCUM_OFFSET: 50
; COMPUTE_PGM_RSRC3_GFX90A:TG_SPLIT: 0
	.text
	.p2alignl 6, 3212836864
	.fill 256, 4, 3212836864
	.type	__hip_cuid_3149e345f9dadd80,@object ; @__hip_cuid_3149e345f9dadd80
	.section	.bss,"aw",@nobits
	.globl	__hip_cuid_3149e345f9dadd80
__hip_cuid_3149e345f9dadd80:
	.byte	0                               ; 0x0
	.size	__hip_cuid_3149e345f9dadd80, 1

	.ident	"AMD clang version 19.0.0git (https://github.com/RadeonOpenCompute/llvm-project roc-6.4.0 25133 c7fe45cf4b819c5991fe208aaa96edf142730f1d)"
	.section	".note.GNU-stack","",@progbits
	.addrsig
	.addrsig_sym __hip_cuid_3149e345f9dadd80
	.amdgpu_metadata
---
amdhsa.kernels:
  - .agpr_count:     0
    .args:
      - .actual_access:  read_only
        .address_space:  global
        .offset:         0
        .size:           8
        .value_kind:     global_buffer
      - .actual_access:  read_only
        .address_space:  global
        .offset:         8
        .size:           8
        .value_kind:     global_buffer
      - .actual_access:  read_only
        .address_space:  global
        .offset:         16
        .size:           8
        .value_kind:     global_buffer
      - .actual_access:  read_only
        .address_space:  global
        .offset:         24
        .size:           8
        .value_kind:     global_buffer
      - .actual_access:  read_only
        .address_space:  global
        .offset:         32
        .size:           8
        .value_kind:     global_buffer
      - .offset:         40
        .size:           8
        .value_kind:     by_value
      - .address_space:  global
        .offset:         48
        .size:           8
        .value_kind:     global_buffer
      - .address_space:  global
        .offset:         56
        .size:           8
        .value_kind:     global_buffer
      - .address_space:  global
        .offset:         64
        .size:           8
        .value_kind:     global_buffer
      - .address_space:  global
        .offset:         72
        .size:           8
        .value_kind:     global_buffer
      - .offset:         80
        .size:           4
        .value_kind:     by_value
      - .address_space:  global
        .offset:         88
        .size:           8
        .value_kind:     global_buffer
      - .address_space:  global
        .offset:         96
        .size:           8
        .value_kind:     global_buffer
    .group_segment_fixed_size: 4576
    .kernarg_segment_align: 8
    .kernarg_segment_size: 104
    .language:       OpenCL C
    .language_version:
      - 2
      - 0
    .max_flat_workgroup_size: 52
    .name:           bluestein_single_back_len572_dim1_sp_op_CI_CI
    .private_segment_fixed_size: 0
    .sgpr_count:     62
    .sgpr_spill_count: 0
    .symbol:         bluestein_single_back_len572_dim1_sp_op_CI_CI.kd
    .uniform_work_group_size: 1
    .uses_dynamic_stack: false
    .vgpr_count:     202
    .vgpr_spill_count: 0
    .wavefront_size: 64
amdhsa.target:   amdgcn-amd-amdhsa--gfx950
amdhsa.version:
  - 1
  - 2
...

	.end_amdgpu_metadata
